;; amdgpu-corpus repo=ROCm/rocFFT kind=compiled arch=gfx1201 opt=O3
	.text
	.amdgcn_target "amdgcn-amd-amdhsa--gfx1201"
	.amdhsa_code_object_version 6
	.protected	fft_rtc_fwd_len2880_factors_10_6_6_2_2_2_wgs_96_tpt_96_halfLds_dp_ip_CI_unitstride_sbrr_dirReg ; -- Begin function fft_rtc_fwd_len2880_factors_10_6_6_2_2_2_wgs_96_tpt_96_halfLds_dp_ip_CI_unitstride_sbrr_dirReg
	.globl	fft_rtc_fwd_len2880_factors_10_6_6_2_2_2_wgs_96_tpt_96_halfLds_dp_ip_CI_unitstride_sbrr_dirReg
	.p2align	8
	.type	fft_rtc_fwd_len2880_factors_10_6_6_2_2_2_wgs_96_tpt_96_halfLds_dp_ip_CI_unitstride_sbrr_dirReg,@function
fft_rtc_fwd_len2880_factors_10_6_6_2_2_2_wgs_96_tpt_96_halfLds_dp_ip_CI_unitstride_sbrr_dirReg: ; @fft_rtc_fwd_len2880_factors_10_6_6_2_2_2_wgs_96_tpt_96_halfLds_dp_ip_CI_unitstride_sbrr_dirReg
; %bb.0:
	s_clause 0x2
	s_load_b128 s[4:7], s[0:1], 0x0
	s_load_b64 s[8:9], s[0:1], 0x50
	s_load_b64 s[10:11], s[0:1], 0x18
	v_mul_u32_u24_e32 v1, 0x2ab, v0
	v_mov_b32_e32 v3, 0
	s_delay_alu instid0(VALU_DEP_2) | instskip(NEXT) | instid1(VALU_DEP_1)
	v_lshrrev_b32_e32 v1, 16, v1
	v_add_nc_u32_e32 v5, ttmp9, v1
	v_mov_b32_e32 v1, 0
	v_mov_b32_e32 v2, 0
	;; [unrolled: 1-line block ×3, first 2 shown]
	s_wait_kmcnt 0x0
	v_cmp_lt_u64_e64 s2, s[6:7], 2
	s_delay_alu instid0(VALU_DEP_1)
	s_and_b32 vcc_lo, exec_lo, s2
	s_cbranch_vccnz .LBB0_8
; %bb.1:
	s_load_b64 s[2:3], s[0:1], 0x10
	v_mov_b32_e32 v1, 0
	v_mov_b32_e32 v2, 0
	s_add_nc_u64 s[12:13], s[10:11], 8
	s_mov_b64 s[14:15], 1
	s_wait_kmcnt 0x0
	s_add_nc_u64 s[16:17], s[2:3], 8
	s_mov_b32 s3, 0
.LBB0_2:                                ; =>This Inner Loop Header: Depth=1
	s_load_b64 s[18:19], s[16:17], 0x0
                                        ; implicit-def: $vgpr7_vgpr8
	s_mov_b32 s2, exec_lo
	s_wait_kmcnt 0x0
	v_or_b32_e32 v4, s19, v6
	s_delay_alu instid0(VALU_DEP_1)
	v_cmpx_ne_u64_e32 0, v[3:4]
	s_wait_alu 0xfffe
	s_xor_b32 s20, exec_lo, s2
	s_cbranch_execz .LBB0_4
; %bb.3:                                ;   in Loop: Header=BB0_2 Depth=1
	s_cvt_f32_u32 s2, s18
	s_cvt_f32_u32 s21, s19
	s_sub_nc_u64 s[24:25], 0, s[18:19]
	s_wait_alu 0xfffe
	s_delay_alu instid0(SALU_CYCLE_1) | instskip(SKIP_1) | instid1(SALU_CYCLE_2)
	s_fmamk_f32 s2, s21, 0x4f800000, s2
	s_wait_alu 0xfffe
	v_s_rcp_f32 s2, s2
	s_delay_alu instid0(TRANS32_DEP_1) | instskip(SKIP_1) | instid1(SALU_CYCLE_2)
	s_mul_f32 s2, s2, 0x5f7ffffc
	s_wait_alu 0xfffe
	s_mul_f32 s21, s2, 0x2f800000
	s_wait_alu 0xfffe
	s_delay_alu instid0(SALU_CYCLE_2) | instskip(SKIP_1) | instid1(SALU_CYCLE_2)
	s_trunc_f32 s21, s21
	s_wait_alu 0xfffe
	s_fmamk_f32 s2, s21, 0xcf800000, s2
	s_cvt_u32_f32 s23, s21
	s_wait_alu 0xfffe
	s_delay_alu instid0(SALU_CYCLE_1) | instskip(SKIP_1) | instid1(SALU_CYCLE_2)
	s_cvt_u32_f32 s22, s2
	s_wait_alu 0xfffe
	s_mul_u64 s[26:27], s[24:25], s[22:23]
	s_wait_alu 0xfffe
	s_mul_hi_u32 s29, s22, s27
	s_mul_i32 s28, s22, s27
	s_mul_hi_u32 s2, s22, s26
	s_mul_i32 s30, s23, s26
	s_wait_alu 0xfffe
	s_add_nc_u64 s[28:29], s[2:3], s[28:29]
	s_mul_hi_u32 s21, s23, s26
	s_mul_hi_u32 s31, s23, s27
	s_add_co_u32 s2, s28, s30
	s_wait_alu 0xfffe
	s_add_co_ci_u32 s2, s29, s21
	s_mul_i32 s26, s23, s27
	s_add_co_ci_u32 s27, s31, 0
	s_wait_alu 0xfffe
	s_add_nc_u64 s[26:27], s[2:3], s[26:27]
	s_wait_alu 0xfffe
	v_add_co_u32 v4, s2, s22, s26
	s_delay_alu instid0(VALU_DEP_1) | instskip(SKIP_1) | instid1(VALU_DEP_1)
	s_cmp_lg_u32 s2, 0
	s_add_co_ci_u32 s23, s23, s27
	v_readfirstlane_b32 s22, v4
	s_wait_alu 0xfffe
	s_delay_alu instid0(VALU_DEP_1)
	s_mul_u64 s[24:25], s[24:25], s[22:23]
	s_wait_alu 0xfffe
	s_mul_hi_u32 s27, s22, s25
	s_mul_i32 s26, s22, s25
	s_mul_hi_u32 s2, s22, s24
	s_mul_i32 s28, s23, s24
	s_wait_alu 0xfffe
	s_add_nc_u64 s[26:27], s[2:3], s[26:27]
	s_mul_hi_u32 s21, s23, s24
	s_mul_hi_u32 s22, s23, s25
	s_wait_alu 0xfffe
	s_add_co_u32 s2, s26, s28
	s_add_co_ci_u32 s2, s27, s21
	s_mul_i32 s24, s23, s25
	s_add_co_ci_u32 s25, s22, 0
	s_wait_alu 0xfffe
	s_add_nc_u64 s[24:25], s[2:3], s[24:25]
	s_wait_alu 0xfffe
	v_add_co_u32 v4, s2, v4, s24
	s_delay_alu instid0(VALU_DEP_1) | instskip(SKIP_1) | instid1(VALU_DEP_1)
	s_cmp_lg_u32 s2, 0
	s_add_co_ci_u32 s2, s23, s25
	v_mul_hi_u32 v13, v5, v4
	s_wait_alu 0xfffe
	v_mad_co_u64_u32 v[7:8], null, v5, s2, 0
	v_mad_co_u64_u32 v[9:10], null, v6, v4, 0
	;; [unrolled: 1-line block ×3, first 2 shown]
	s_delay_alu instid0(VALU_DEP_3) | instskip(SKIP_1) | instid1(VALU_DEP_4)
	v_add_co_u32 v4, vcc_lo, v13, v7
	s_wait_alu 0xfffd
	v_add_co_ci_u32_e32 v7, vcc_lo, 0, v8, vcc_lo
	s_delay_alu instid0(VALU_DEP_2) | instskip(SKIP_1) | instid1(VALU_DEP_2)
	v_add_co_u32 v4, vcc_lo, v4, v9
	s_wait_alu 0xfffd
	v_add_co_ci_u32_e32 v4, vcc_lo, v7, v10, vcc_lo
	s_wait_alu 0xfffd
	v_add_co_ci_u32_e32 v7, vcc_lo, 0, v12, vcc_lo
	s_delay_alu instid0(VALU_DEP_2) | instskip(SKIP_1) | instid1(VALU_DEP_2)
	v_add_co_u32 v4, vcc_lo, v4, v11
	s_wait_alu 0xfffd
	v_add_co_ci_u32_e32 v9, vcc_lo, 0, v7, vcc_lo
	s_delay_alu instid0(VALU_DEP_2) | instskip(SKIP_1) | instid1(VALU_DEP_3)
	v_mul_lo_u32 v10, s19, v4
	v_mad_co_u64_u32 v[7:8], null, s18, v4, 0
	v_mul_lo_u32 v11, s18, v9
	s_delay_alu instid0(VALU_DEP_2) | instskip(NEXT) | instid1(VALU_DEP_2)
	v_sub_co_u32 v7, vcc_lo, v5, v7
	v_add3_u32 v8, v8, v11, v10
	s_delay_alu instid0(VALU_DEP_1) | instskip(SKIP_1) | instid1(VALU_DEP_1)
	v_sub_nc_u32_e32 v10, v6, v8
	s_wait_alu 0xfffd
	v_subrev_co_ci_u32_e64 v10, s2, s19, v10, vcc_lo
	v_add_co_u32 v11, s2, v4, 2
	s_wait_alu 0xf1ff
	v_add_co_ci_u32_e64 v12, s2, 0, v9, s2
	v_sub_co_u32 v13, s2, v7, s18
	v_sub_co_ci_u32_e32 v8, vcc_lo, v6, v8, vcc_lo
	s_wait_alu 0xf1ff
	v_subrev_co_ci_u32_e64 v10, s2, 0, v10, s2
	s_delay_alu instid0(VALU_DEP_3) | instskip(NEXT) | instid1(VALU_DEP_3)
	v_cmp_le_u32_e32 vcc_lo, s18, v13
	v_cmp_eq_u32_e64 s2, s19, v8
	s_wait_alu 0xfffd
	v_cndmask_b32_e64 v13, 0, -1, vcc_lo
	v_cmp_le_u32_e32 vcc_lo, s19, v10
	s_wait_alu 0xfffd
	v_cndmask_b32_e64 v14, 0, -1, vcc_lo
	v_cmp_le_u32_e32 vcc_lo, s18, v7
	;; [unrolled: 3-line block ×3, first 2 shown]
	s_wait_alu 0xfffd
	v_cndmask_b32_e64 v15, 0, -1, vcc_lo
	v_cmp_eq_u32_e32 vcc_lo, s19, v10
	s_wait_alu 0xf1ff
	s_delay_alu instid0(VALU_DEP_2)
	v_cndmask_b32_e64 v7, v15, v7, s2
	s_wait_alu 0xfffd
	v_cndmask_b32_e32 v10, v14, v13, vcc_lo
	v_add_co_u32 v13, vcc_lo, v4, 1
	s_wait_alu 0xfffd
	v_add_co_ci_u32_e32 v14, vcc_lo, 0, v9, vcc_lo
	s_delay_alu instid0(VALU_DEP_3) | instskip(SKIP_2) | instid1(VALU_DEP_3)
	v_cmp_ne_u32_e32 vcc_lo, 0, v10
	s_wait_alu 0xfffd
	v_cndmask_b32_e32 v10, v13, v11, vcc_lo
	v_cndmask_b32_e32 v8, v14, v12, vcc_lo
	v_cmp_ne_u32_e32 vcc_lo, 0, v7
	s_wait_alu 0xfffd
	s_delay_alu instid0(VALU_DEP_2)
	v_dual_cndmask_b32 v7, v4, v10 :: v_dual_cndmask_b32 v8, v9, v8
.LBB0_4:                                ;   in Loop: Header=BB0_2 Depth=1
	s_wait_alu 0xfffe
	s_and_not1_saveexec_b32 s2, s20
	s_cbranch_execz .LBB0_6
; %bb.5:                                ;   in Loop: Header=BB0_2 Depth=1
	v_cvt_f32_u32_e32 v4, s18
	s_sub_co_i32 s20, 0, s18
	s_delay_alu instid0(VALU_DEP_1) | instskip(NEXT) | instid1(TRANS32_DEP_1)
	v_rcp_iflag_f32_e32 v4, v4
	v_mul_f32_e32 v4, 0x4f7ffffe, v4
	s_delay_alu instid0(VALU_DEP_1) | instskip(SKIP_1) | instid1(VALU_DEP_1)
	v_cvt_u32_f32_e32 v4, v4
	s_wait_alu 0xfffe
	v_mul_lo_u32 v7, s20, v4
	s_delay_alu instid0(VALU_DEP_1) | instskip(NEXT) | instid1(VALU_DEP_1)
	v_mul_hi_u32 v7, v4, v7
	v_add_nc_u32_e32 v4, v4, v7
	s_delay_alu instid0(VALU_DEP_1) | instskip(NEXT) | instid1(VALU_DEP_1)
	v_mul_hi_u32 v4, v5, v4
	v_mul_lo_u32 v7, v4, s18
	v_add_nc_u32_e32 v8, 1, v4
	s_delay_alu instid0(VALU_DEP_2) | instskip(NEXT) | instid1(VALU_DEP_1)
	v_sub_nc_u32_e32 v7, v5, v7
	v_subrev_nc_u32_e32 v9, s18, v7
	v_cmp_le_u32_e32 vcc_lo, s18, v7
	s_wait_alu 0xfffd
	s_delay_alu instid0(VALU_DEP_2) | instskip(NEXT) | instid1(VALU_DEP_1)
	v_dual_cndmask_b32 v7, v7, v9 :: v_dual_cndmask_b32 v4, v4, v8
	v_cmp_le_u32_e32 vcc_lo, s18, v7
	s_delay_alu instid0(VALU_DEP_2) | instskip(SKIP_1) | instid1(VALU_DEP_1)
	v_add_nc_u32_e32 v8, 1, v4
	s_wait_alu 0xfffd
	v_dual_cndmask_b32 v7, v4, v8 :: v_dual_mov_b32 v8, v3
.LBB0_6:                                ;   in Loop: Header=BB0_2 Depth=1
	s_wait_alu 0xfffe
	s_or_b32 exec_lo, exec_lo, s2
	s_load_b64 s[20:21], s[12:13], 0x0
	s_delay_alu instid0(VALU_DEP_1)
	v_mul_lo_u32 v4, v8, s18
	v_mul_lo_u32 v11, v7, s19
	v_mad_co_u64_u32 v[9:10], null, v7, s18, 0
	s_add_nc_u64 s[14:15], s[14:15], 1
	s_add_nc_u64 s[12:13], s[12:13], 8
	s_wait_alu 0xfffe
	v_cmp_ge_u64_e64 s2, s[14:15], s[6:7]
	s_add_nc_u64 s[16:17], s[16:17], 8
	s_delay_alu instid0(VALU_DEP_2) | instskip(NEXT) | instid1(VALU_DEP_3)
	v_add3_u32 v4, v10, v11, v4
	v_sub_co_u32 v5, vcc_lo, v5, v9
	s_wait_alu 0xfffd
	s_delay_alu instid0(VALU_DEP_2) | instskip(SKIP_3) | instid1(VALU_DEP_2)
	v_sub_co_ci_u32_e32 v4, vcc_lo, v6, v4, vcc_lo
	s_and_b32 vcc_lo, exec_lo, s2
	s_wait_kmcnt 0x0
	v_mul_lo_u32 v6, s21, v5
	v_mul_lo_u32 v4, s20, v4
	v_mad_co_u64_u32 v[1:2], null, s20, v5, v[1:2]
	s_delay_alu instid0(VALU_DEP_1)
	v_add3_u32 v2, v6, v2, v4
	s_wait_alu 0xfffe
	s_cbranch_vccnz .LBB0_9
; %bb.7:                                ;   in Loop: Header=BB0_2 Depth=1
	v_dual_mov_b32 v5, v7 :: v_dual_mov_b32 v6, v8
	s_branch .LBB0_2
.LBB0_8:
	v_dual_mov_b32 v8, v6 :: v_dual_mov_b32 v7, v5
.LBB0_9:
	s_lshl_b64 s[2:3], s[6:7], 3
	v_mul_hi_u32 v3, 0x2aaaaab, v0
	s_wait_alu 0xfffe
	s_add_nc_u64 s[2:3], s[10:11], s[2:3]
	s_load_b64 s[0:1], s[0:1], 0x20
	s_load_b64 s[2:3], s[2:3], 0x0
	s_delay_alu instid0(VALU_DEP_1) | instskip(NEXT) | instid1(VALU_DEP_1)
	v_mul_u32_u24_e32 v3, 0x60, v3
	v_sub_nc_u32_e32 v169, v0, v3
	s_delay_alu instid0(VALU_DEP_1)
	v_or_b32_e32 v171, 0x180, v169
	v_or_b32_e32 v168, 0x300, v169
	;; [unrolled: 1-line block ×3, first 2 shown]
	s_wait_kmcnt 0x0
	v_cmp_gt_u64_e32 vcc_lo, s[0:1], v[7:8]
	v_mul_lo_u32 v3, s2, v8
	v_mul_lo_u32 v4, s3, v7
	v_mad_co_u64_u32 v[0:1], null, s2, v7, v[1:2]
	v_cmp_le_u64_e64 s0, s[0:1], v[7:8]
	s_delay_alu instid0(VALU_DEP_2) | instskip(NEXT) | instid1(VALU_DEP_2)
	v_add3_u32 v1, v4, v1, v3
	s_and_saveexec_b32 s1, s0
	s_wait_alu 0xfffe
	s_xor_b32 s0, exec_lo, s1
; %bb.10:
	v_mov_b32_e32 v170, 0
	v_or_b32_e32 v171, 0x180, v169
	v_or_b32_e32 v168, 0x300, v169
	;; [unrolled: 1-line block ×3, first 2 shown]
	s_delay_alu instid0(VALU_DEP_4)
	v_mov_b32_e32 v172, v170
; %bb.11:
	s_wait_alu 0xfffe
	s_or_saveexec_b32 s1, s0
	v_lshlrev_b64_e32 v[164:165], 4, v[0:1]
                                        ; implicit-def: $vgpr14_vgpr15
                                        ; implicit-def: $vgpr10_vgpr11
                                        ; implicit-def: $vgpr42_vgpr43
                                        ; implicit-def: $vgpr34_vgpr35
                                        ; implicit-def: $vgpr54_vgpr55
                                        ; implicit-def: $vgpr78_vgpr79
                                        ; implicit-def: $vgpr50_vgpr51
                                        ; implicit-def: $vgpr58_vgpr59
                                        ; implicit-def: $vgpr82_vgpr83
                                        ; implicit-def: $vgpr74_vgpr75
                                        ; implicit-def: $vgpr18_vgpr19
                                        ; implicit-def: $vgpr2_vgpr3
                                        ; implicit-def: $vgpr70_vgpr71
                                        ; implicit-def: $vgpr30_vgpr31
                                        ; implicit-def: $vgpr94_vgpr95
                                        ; implicit-def: $vgpr66_vgpr67
                                        ; implicit-def: $vgpr98_vgpr99
                                        ; implicit-def: $vgpr106_vgpr107
                                        ; implicit-def: $vgpr86_vgpr87
                                        ; implicit-def: $vgpr46_vgpr47
                                        ; implicit-def: $vgpr26_vgpr27
                                        ; implicit-def: $vgpr6_vgpr7
                                        ; implicit-def: $vgpr90_vgpr91
                                        ; implicit-def: $vgpr38_vgpr39
                                        ; implicit-def: $vgpr102_vgpr103
                                        ; implicit-def: $vgpr62_vgpr63
                                        ; implicit-def: $vgpr118_vgpr119
                                        ; implicit-def: $vgpr114_vgpr115
                                        ; implicit-def: $vgpr110_vgpr111
                                        ; implicit-def: $vgpr22_vgpr23
	s_wait_alu 0xfffe
	s_xor_b32 exec_lo, exec_lo, s1
; %bb.12:
	v_mov_b32_e32 v170, 0
	s_delay_alu instid0(VALU_DEP_2) | instskip(SKIP_2) | instid1(VALU_DEP_3)
	v_add_co_u32 v2, s0, s8, v164
	s_wait_alu 0xf1ff
	v_add_co_ci_u32_e64 v3, s0, s9, v165, s0
	v_lshlrev_b64_e32 v[0:1], 4, v[169:170]
	v_mov_b32_e32 v172, v170
	s_delay_alu instid0(VALU_DEP_2) | instskip(SKIP_1) | instid1(VALU_DEP_3)
	v_add_co_u32 v12, s0, v2, v0
	s_wait_alu 0xf1ff
	v_add_co_ci_u32_e64 v13, s0, v3, v1, s0
	s_clause 0x1d
	global_load_b128 v[20:23], v[12:13], off
	global_load_b128 v[44:47], v[12:13], off offset:1536
	global_load_b128 v[112:115], v[12:13], off offset:9216
	;; [unrolled: 1-line block ×29, first 2 shown]
; %bb.13:
	s_or_b32 exec_lo, exec_lo, s1
	s_wait_loadcnt 0x7
	v_add_f64_e32 v[120:121], v[88:89], v[100:101]
	s_wait_loadcnt 0x3
	v_add_f64_e32 v[122:123], v[24:25], v[116:117]
	v_add_f64_e32 v[179:180], v[90:91], v[102:103]
	v_add_f64_e32 v[181:182], v[26:27], v[118:119]
	v_add_f64_e64 v[191:192], v[118:119], -v[26:27]
	v_add_f64_e32 v[150:151], v[112:113], v[20:21]
	v_add_f64_e32 v[152:153], v[114:115], v[22:23]
	v_add_f64_e64 v[199:200], v[102:103], -v[90:91]
	s_mov_b32 s2, 0x134454ff
	v_add_f64_e32 v[156:157], v[118:119], v[110:111]
	v_add_f64_e32 v[160:161], v[106:107], v[46:47]
	s_mov_b32 s3, 0x3fee6f0e
	v_add_f64_e32 v[162:163], v[36:37], v[60:61]
	v_add_f64_e32 v[173:174], v[4:5], v[112:113]
	;; [unrolled: 1-line block ×8, first 2 shown]
	v_add_f64_e64 v[195:196], v[116:117], -v[100:101]
	v_add_f64_e64 v[197:198], v[100:101], -v[116:117]
	v_add_f64_e64 v[203:204], v[116:117], -v[24:25]
	v_add_f64_e64 v[211:212], v[24:25], -v[88:89]
	v_add_f64_e64 v[213:214], v[88:89], -v[24:25]
	s_mov_b32 s1, 0xbfee6f0e
	s_wait_alu 0xfffe
	s_mov_b32 s0, s2
	v_add_f64_e64 v[138:139], v[114:115], -v[6:7]
	v_add_f64_e64 v[144:145], v[112:113], -v[60:61]
	;; [unrolled: 1-line block ×8, first 2 shown]
	s_mov_b32 s10, 0x4755a5e
	v_add_f64_e32 v[154:155], v[116:117], v[108:109]
	v_add_f64_e64 v[205:206], v[118:119], -v[102:103]
	v_fma_f64 v[193:194], v[120:121], -0.5, v[108:109]
	v_fma_f64 v[201:202], v[122:123], -0.5, v[108:109]
	;; [unrolled: 1-line block ×4, first 2 shown]
	v_add_f64_e64 v[207:208], v[102:103], -v[118:119]
	v_add_f64_e32 v[60:61], v[60:61], v[150:151]
	v_add_f64_e32 v[62:63], v[62:63], v[152:153]
	v_add_f64_e32 v[215:216], v[68:69], v[92:93]
	s_wait_loadcnt 0x1
	v_add_f64_e32 v[217:218], v[16:17], v[96:97]
	v_add_f64_e32 v[219:220], v[70:71], v[94:95]
	v_add_f64_e64 v[108:109], v[106:107], -v[2:3]
	v_add_f64_e32 v[227:228], v[98:99], v[86:87]
	v_add_f64_e64 v[118:119], v[106:107], -v[66:67]
	v_add_f64_e64 v[106:107], v[66:67], -v[106:107]
	;; [unrolled: 1-line block ×3, first 2 shown]
	v_add_f64_e32 v[102:103], v[102:103], v[156:157]
	v_add_f64_e32 v[156:157], v[34:35], v[78:79]
	v_add_f64_e32 v[66:67], v[66:67], v[160:161]
	v_add_f64_e32 v[160:161], v[10:11], v[58:59]
	s_mov_b32 s11, 0x3fe2cf23
	v_add_f64_e32 v[158:159], v[104:105], v[44:45]
	v_add_f64_e32 v[221:222], v[18:19], v[98:99]
	;; [unrolled: 1-line block ×3, first 2 shown]
	v_fma_f64 v[162:163], v[162:163], -0.5, v[20:21]
	v_fma_f64 v[20:21], v[173:174], -0.5, v[20:21]
	v_fma_f64 v[173:174], v[175:176], -0.5, v[22:23]
	v_fma_f64 v[22:23], v[177:178], -0.5, v[22:23]
	v_add_f64_e32 v[175:176], v[40:41], v[52:53]
	s_wait_loadcnt 0x0
	v_add_f64_e32 v[177:178], v[12:13], v[48:49]
	v_fma_f64 v[183:184], v[183:184], -0.5, v[44:45]
	v_fma_f64 v[44:45], v[185:186], -0.5, v[44:45]
	v_fma_f64 v[185:186], v[187:188], -0.5, v[46:47]
	v_fma_f64 v[46:47], v[189:190], -0.5, v[46:47]
	v_add_f64_e32 v[187:188], v[42:43], v[54:55]
	v_add_f64_e32 v[189:190], v[14:15], v[50:51]
	v_add_f64_e64 v[223:224], v[26:27], -v[90:91]
	v_add_f64_e64 v[229:230], v[90:91], -v[26:27]
	v_add_f64_e32 v[195:196], v[211:212], v[195:196]
	v_fma_f64 v[181:182], v[191:192], s[2:3], v[193:194]
	s_wait_alu 0xfffe
	v_fma_f64 v[193:194], v[191:192], s[0:1], v[193:194]
	v_fma_f64 v[150:151], v[199:200], s[0:1], v[201:202]
	;; [unrolled: 1-line block ×3, first 2 shown]
	v_add_f64_e32 v[197:198], v[213:214], v[197:198]
	v_fma_f64 v[213:214], v[203:204], s[0:1], v[179:180]
	v_fma_f64 v[179:180], v[203:204], s[2:3], v[179:180]
	s_mov_b32 s7, 0xbfe2cf23
	s_mov_b32 s6, s10
	;; [unrolled: 1-line block ×3, first 2 shown]
	v_add_f64_e64 v[128:129], v[98:99], -v[18:19]
	v_add_f64_e64 v[201:202], v[98:99], -v[94:95]
	;; [unrolled: 1-line block ×3, first 2 shown]
	v_fma_f64 v[215:216], v[215:216], -0.5, v[84:85]
	v_fma_f64 v[84:85], v[217:218], -0.5, v[84:85]
	;; [unrolled: 1-line block ×3, first 2 shown]
	v_add_f64_e64 v[219:220], v[94:95], -v[70:71]
	v_add_f64_e32 v[94:95], v[94:95], v[227:228]
	v_add_f64_e32 v[227:228], v[58:59], v[74:75]
	v_fma_f64 v[156:157], v[156:157], -0.5, v[74:75]
	v_fma_f64 v[74:75], v[160:161], -0.5, v[74:75]
	v_add_f64_e32 v[160:161], v[48:49], v[80:81]
	s_mov_b32 s13, 0x3fd3c6ef
	v_add_f64_e64 v[122:123], v[104:105], -v[64:65]
	v_add_f64_e64 v[116:117], v[64:65], -v[104:105]
	;; [unrolled: 1-line block ×5, first 2 shown]
	v_add_f64_e32 v[100:101], v[100:101], v[154:155]
	v_add_f64_e32 v[154:155], v[32:33], v[76:77]
	;; [unrolled: 1-line block ×4, first 2 shown]
	v_fma_f64 v[86:87], v[221:222], -0.5, v[86:87]
	v_add_f64_e64 v[221:222], v[92:93], -v[68:69]
	v_add_f64_e32 v[92:93], v[92:93], v[225:226]
	v_add_f64_e32 v[225:226], v[56:57], v[72:73]
	v_fma_f64 v[175:176], v[175:176], -0.5, v[80:81]
	v_fma_f64 v[80:81], v[177:178], -0.5, v[80:81]
	v_fma_f64 v[181:182], v[199:200], s[10:11], v[181:182]
	s_wait_alu 0xfffe
	v_fma_f64 v[193:194], v[199:200], s[6:7], v[193:194]
	v_fma_f64 v[199:200], v[209:210], s[2:3], v[110:111]
	;; [unrolled: 1-line block ×5, first 2 shown]
	v_fma_f64 v[177:178], v[187:188], -0.5, v[82:83]
	v_fma_f64 v[187:188], v[189:190], -0.5, v[82:83]
	v_add_f64_e32 v[82:83], v[50:51], v[82:83]
	v_add_f64_e64 v[148:149], v[4:5], -v[36:37]
	v_add_f64_e32 v[205:206], v[223:224], v[205:206]
	v_add_f64_e32 v[207:208], v[229:230], v[207:208]
	v_fma_f64 v[229:230], v[138:139], s[2:3], v[162:163]
	v_fma_f64 v[162:163], v[138:139], s[0:1], v[162:163]
	v_fma_f64 v[213:214], v[209:210], s[6:7], v[213:214]
	v_fma_f64 v[179:180], v[209:210], s[10:11], v[179:180]
	v_fma_f64 v[209:210], v[140:141], s[0:1], v[20:21]
	v_fma_f64 v[20:21], v[140:141], s[2:3], v[20:21]
	v_add_f64_e64 v[146:147], v[36:37], -v[4:5]
	s_mov_b32 s14, 0x9b97f4a8
	v_add_f64_e64 v[136:137], v[6:7], -v[38:39]
	v_add_f64_e64 v[134:135], v[38:39], -v[6:7]
	v_add_f64_e32 v[160:161], v[52:53], v[160:161]
	s_mov_b32 s15, 0x3fe9e377
	v_add_f64_e64 v[112:113], v[112:113], -v[4:5]
	v_add_f64_e64 v[189:190], v[68:69], -v[16:17]
	v_add_f64_e32 v[36:37], v[36:37], v[60:61]
	v_add_f64_e64 v[60:61], v[76:77], -v[32:33]
	v_add_f64_e64 v[126:127], v[0:1], -v[28:29]
	v_fma_f64 v[154:155], v[154:155], -0.5, v[72:73]
	v_add_f64_e64 v[235:236], v[28:29], -v[0:1]
	v_fma_f64 v[72:73], v[158:159], -0.5, v[72:73]
	v_add_f64_e64 v[158:159], v[16:17], -v[68:69]
	v_add_f64_e64 v[211:212], v[2:3], -v[30:31]
	;; [unrolled: 1-line block ×3, first 2 shown]
	v_add_f64_e32 v[88:89], v[88:89], v[100:101]
	v_add_f64_e32 v[28:29], v[28:29], v[64:65]
	;; [unrolled: 1-line block ×3, first 2 shown]
	v_fma_f64 v[181:182], v[195:196], s[12:13], v[181:182]
	v_fma_f64 v[193:194], v[195:196], s[12:13], v[193:194]
	;; [unrolled: 1-line block ×6, first 2 shown]
	v_add_f64_e64 v[195:196], v[56:57], -v[76:77]
	v_add_f64_e64 v[197:198], v[76:77], -v[56:57]
	v_add_f64_e32 v[76:77], v[76:77], v[225:226]
	v_add_f64_e32 v[225:226], v[78:79], v[227:228]
	;; [unrolled: 1-line block ×4, first 2 shown]
	v_fma_f64 v[64:65], v[140:141], s[10:11], v[229:230]
	v_fma_f64 v[66:67], v[140:141], s[6:7], v[162:163]
	v_add_f64_e64 v[229:230], v[50:51], -v[14:15]
	v_fma_f64 v[162:163], v[205:206], s[12:13], v[179:180]
	v_fma_f64 v[140:141], v[138:139], s[10:11], v[209:210]
	;; [unrolled: 1-line block ×4, first 2 shown]
	v_add_f64_e32 v[142:143], v[146:147], v[142:143]
	v_add_f64_e64 v[148:149], v[54:55], -v[42:43]
	v_add_f64_e64 v[96:97], v[96:97], -v[16:17]
	;; [unrolled: 1-line block ×6, first 2 shown]
	v_add_f64_e32 v[132:133], v[136:137], v[132:133]
	v_add_f64_e64 v[136:137], v[12:13], -v[40:41]
	v_add_f64_e32 v[130:131], v[134:135], v[130:131]
	v_add_f64_e64 v[134:135], v[40:41], -v[12:13]
	v_add_f64_e32 v[40:41], v[40:41], v[160:161]
	v_fma_f64 v[160:161], v[128:129], s[2:3], v[215:216]
	v_add_f64_e64 v[223:224], v[18:19], -v[70:71]
	v_add_f64_e64 v[203:204], v[78:79], -v[34:35]
	;; [unrolled: 1-line block ×3, first 2 shown]
	v_add_f64_e32 v[90:91], v[90:91], v[102:103]
	v_add_f64_e64 v[100:101], v[8:9], -v[32:33]
	v_add_f64_e64 v[102:103], v[32:33], -v[8:9]
	s_wait_alu 0xfffe
	v_mul_f64_e32 v[179:180], s[14:15], v[181:182]
	v_mul_f64_e32 v[209:210], s[14:15], v[193:194]
	v_fma_f64 v[199:200], v[207:208], s[12:13], v[199:200]
	v_fma_f64 v[110:111], v[207:208], s[12:13], v[110:111]
	v_mul_f64_e32 v[205:206], s[12:13], v[150:151]
	v_mul_f64_e32 v[207:208], s[12:13], v[152:153]
	v_add_f64_e32 v[68:69], v[68:69], v[92:93]
	v_add_f64_e32 v[70:71], v[70:71], v[94:95]
	v_add_f64_e64 v[92:93], v[50:51], -v[54:55]
	v_add_f64_e64 v[50:51], v[54:55], -v[50:51]
	;; [unrolled: 1-line block ×4, first 2 shown]
	v_add_f64_e32 v[158:159], v[158:159], v[231:232]
	v_add_f64_e64 v[231:232], v[14:15], -v[42:43]
	v_add_f64_e32 v[189:190], v[189:190], v[233:234]
	v_add_f64_e64 v[233:234], v[42:43], -v[14:15]
	v_add_f64_e32 v[32:33], v[32:33], v[76:77]
	v_add_f64_e32 v[34:35], v[34:35], v[225:226]
	;; [unrolled: 1-line block ×3, first 2 shown]
	v_fma_f64 v[76:77], v[112:113], s[0:1], v[173:174]
	v_fma_f64 v[82:83], v[112:113], s[2:3], v[173:174]
	;; [unrolled: 1-line block ×4, first 2 shown]
	v_add_f64_e32 v[38:39], v[38:39], v[62:63]
	v_add_f64_e32 v[4:5], v[4:5], v[36:37]
	;; [unrolled: 1-line block ×3, first 2 shown]
	v_fma_f64 v[36:37], v[144:145], s[12:13], v[64:65]
	v_fma_f64 v[64:65], v[144:145], s[12:13], v[66:67]
	;; [unrolled: 1-line block ×6, first 2 shown]
	v_add_f64_e32 v[239:240], v[2:3], v[30:31]
	v_fma_f64 v[30:31], v[48:49], s[2:3], v[177:178]
	v_add_f64_e32 v[245:246], v[12:13], v[40:41]
	v_fma_f64 v[40:41], v[219:220], s[10:11], v[160:161]
	v_add_f64_e64 v[104:105], v[104:105], -v[0:1]
	v_add_f64_e32 v[28:29], v[0:1], v[28:29]
	v_fma_f64 v[66:67], v[138:139], s[10:11], v[179:180]
	v_fma_f64 v[179:180], v[128:129], s[0:1], v[215:216]
	v_fma_f64 v[144:145], v[162:163], s[10:11], -v[209:210]
	v_fma_f64 v[209:210], v[221:222], s[0:1], v[86:87]
	v_fma_f64 v[140:141], v[199:200], s[2:3], v[205:206]
	v_fma_f64 v[142:143], v[110:111], s[2:3], -v[207:208]
	v_fma_f64 v[205:206], v[229:230], s[2:3], v[175:176]
	v_fma_f64 v[207:208], v[148:149], s[0:1], v[80:81]
	;; [unrolled: 1-line block ×7, first 2 shown]
	v_add_f64_e32 v[241:242], v[18:19], v[70:71]
	v_add_f64_e64 v[62:63], v[58:59], -v[78:79]
	v_add_f64_e64 v[78:79], v[78:79], -v[58:59]
	v_add_f64_e32 v[70:71], v[8:9], v[32:33]
	v_add_f64_e32 v[243:244], v[10:11], v[34:35]
	v_add_f64_e64 v[58:59], v[58:59], -v[10:11]
	v_fma_f64 v[32:33], v[114:115], s[6:7], v[76:77]
	v_fma_f64 v[34:35], v[114:115], s[10:11], v[82:83]
	v_add_f64_e32 v[114:115], v[14:15], v[42:43]
	v_fma_f64 v[42:43], v[128:129], s[10:11], v[173:174]
	v_fma_f64 v[76:77], v[128:129], s[6:7], v[84:85]
	v_add_f64_e32 v[38:39], v[6:7], v[38:39]
	v_add_f64_e32 v[0:1], v[24:25], v[4:5]
	v_add_f64_e64 v[6:7], v[4:5], -v[24:25]
	v_add_f64_e64 v[56:57], v[56:57], -v[8:9]
	v_fma_f64 v[237:238], v[52:53], s[0:1], v[187:188]
	v_add_f64_e32 v[68:69], v[16:17], v[68:69]
	v_fma_f64 v[84:85], v[52:53], s[2:3], v[187:188]
	v_add_f64_e32 v[98:99], v[227:228], v[98:99]
	v_add_f64_e32 v[26:27], v[26:27], v[90:91]
	v_fma_f64 v[90:91], v[108:109], s[2:3], v[183:184]
	v_fma_f64 v[82:83], v[112:113], s[6:7], v[225:226]
	;; [unrolled: 1-line block ×5, first 2 shown]
	v_add_f64_e32 v[2:3], v[36:37], v[66:67]
	v_fma_f64 v[24:25], v[219:220], s[6:7], v[179:180]
	v_add_f64_e64 v[8:9], v[36:37], -v[66:67]
	v_fma_f64 v[66:67], v[48:49], s[0:1], v[177:178]
	v_add_f64_e64 v[10:11], v[88:89], -v[140:141]
	v_add_f64_e32 v[14:15], v[20:21], v[142:143]
	v_add_f64_e64 v[16:17], v[20:21], -v[142:143]
	v_add_f64_e32 v[20:21], v[136:137], v[146:147]
	v_fma_f64 v[36:37], v[148:149], s[10:11], v[205:206]
	v_add_f64_e32 v[12:13], v[88:89], v[140:141]
	v_add_f64_e32 v[88:89], v[134:135], v[213:214]
	v_fma_f64 v[128:129], v[229:230], s[10:11], v[207:208]
	v_fma_f64 v[80:81], v[229:230], s[6:7], v[80:81]
	v_add_f64_e32 v[4:5], v[64:65], v[144:145]
	v_add_f64_e64 v[18:19], v[64:65], -v[144:145]
	v_fma_f64 v[64:65], v[148:149], s[6:7], v[175:176]
	v_fma_f64 v[136:137], v[96:97], s[10:11], v[209:210]
	v_add_f64_e32 v[134:135], v[223:224], v[201:202]
	v_fma_f64 v[140:141], v[221:222], s[10:11], v[215:216]
	v_fma_f64 v[144:145], v[221:222], s[6:7], v[217:218]
	v_add_f64_e32 v[92:93], v[231:232], v[92:93]
	;; [unrolled: 3-line block ×3, first 2 shown]
	v_fma_f64 v[126:127], v[104:105], s[0:1], v[185:186]
	v_fma_f64 v[142:143], v[104:105], s[2:3], v[185:186]
	;; [unrolled: 1-line block ×6, first 2 shown]
	v_add_f64_e32 v[50:51], v[233:234], v[50:51]
	v_fma_f64 v[96:97], v[48:49], s[10:11], v[237:238]
	v_fma_f64 v[146:147], v[58:59], s[2:3], v[154:155]
	;; [unrolled: 1-line block ×13, first 2 shown]
	v_add_f64_e32 v[116:117], v[235:236], v[116:117]
	v_fma_f64 v[112:113], v[108:109], s[10:11], v[112:113]
	v_fma_f64 v[36:37], v[20:21], s[12:13], v[36:37]
	;; [unrolled: 1-line block ×3, first 2 shown]
	v_mul_f64_e32 v[148:149], s[6:7], v[181:182]
	v_fma_f64 v[66:67], v[88:89], s[12:13], v[128:129]
	v_fma_f64 v[80:81], v[88:89], s[12:13], v[80:81]
	v_mul_f64_e32 v[88:89], s[12:13], v[110:111]
	v_add_f64_e32 v[108:109], v[211:212], v[118:119]
	v_fma_f64 v[20:21], v[20:21], s[12:13], v[64:65]
	v_fma_f64 v[110:111], v[98:99], s[12:13], v[136:137]
	v_mul_f64_e32 v[64:65], s[0:1], v[150:151]
	v_fma_f64 v[128:129], v[134:135], s[12:13], v[140:141]
	v_fma_f64 v[136:137], v[60:61], s[2:3], v[74:75]
	;; [unrolled: 1-line block ×5, first 2 shown]
	v_mul_f64_e32 v[140:141], s[14:15], v[40:41]
	v_fma_f64 v[118:119], v[120:121], s[6:7], v[126:127]
	v_fma_f64 v[120:121], v[120:121], s[10:11], v[142:143]
	;; [unrolled: 1-line block ×3, first 2 shown]
	v_mul_f64_e32 v[142:143], s[12:13], v[42:43]
	v_mul_f64_e32 v[144:145], s[12:13], v[76:77]
	v_fma_f64 v[124:125], v[124:125], s[6:7], v[183:184]
	v_add_f64_e32 v[100:101], v[100:101], v[195:196]
	v_fma_f64 v[96:97], v[50:51], s[12:13], v[96:97]
	v_fma_f64 v[146:147], v[203:204], s[10:11], v[146:147]
	v_add_f64_e32 v[102:103], v[102:103], v[197:198]
	v_mul_f64_e32 v[126:127], s[14:15], v[162:163]
	v_fma_f64 v[98:99], v[56:57], s[2:3], v[156:157]
	v_fma_f64 v[34:35], v[104:105], s[6:7], v[34:35]
	v_fma_f64 v[46:47], v[104:105], s[10:11], v[46:47]
	v_fma_f64 v[104:105], v[56:57], s[0:1], v[156:157]
	v_mul_f64_e32 v[150:151], s[14:15], v[24:25]
	v_fma_f64 v[154:155], v[58:59], s[10:11], v[158:159]
	v_fma_f64 v[58:59], v[58:59], s[6:7], v[72:73]
	;; [unrolled: 1-line block ×5, first 2 shown]
	v_add_f64_e32 v[106:107], v[191:192], v[106:107]
	v_mul_f64_e32 v[48:49], s[14:15], v[36:37]
	v_mul_f64_e32 v[40:41], s[6:7], v[40:41]
	;; [unrolled: 1-line block ×5, first 2 shown]
	v_fma_f64 v[82:83], v[130:131], s[12:13], v[82:83]
	v_add_f64_e32 v[78:79], v[94:95], v[78:79]
	v_mul_f64_e32 v[156:157], s[14:15], v[20:21]
	v_mul_f64_e32 v[158:159], s[12:13], v[110:111]
	v_fma_f64 v[22:23], v[130:131], s[12:13], v[22:23]
	v_mul_f64_e32 v[160:161], s[14:15], v[128:129]
	v_fma_f64 v[136:137], v[56:57], s[6:7], v[136:137]
	v_fma_f64 v[56:57], v[56:57], s[10:11], v[74:75]
	;; [unrolled: 1-line block ×3, first 2 shown]
	v_fma_f64 v[88:89], v[152:153], s[0:1], -v[88:89]
	v_fma_f64 v[90:91], v[122:123], s[12:13], v[90:91]
	v_fma_f64 v[112:113], v[116:117], s[12:13], v[112:113]
	v_mul_f64_e32 v[130:131], s[14:15], v[30:31]
	v_fma_f64 v[44:45], v[116:117], s[12:13], v[44:45]
	v_fma_f64 v[116:117], v[134:135], s[10:11], v[140:141]
	;; [unrolled: 1-line block ×4, first 2 shown]
	v_fma_f64 v[110:111], v[110:111], s[2:3], -v[144:145]
	v_fma_f64 v[122:123], v[122:123], s[12:13], v[124:125]
	v_mul_f64_e32 v[36:37], s[6:7], v[36:37]
	v_fma_f64 v[140:141], v[100:101], s[12:13], v[146:147]
	v_fma_f64 v[94:95], v[193:194], s[6:7], -v[126:127]
	v_mul_f64_e32 v[126:127], s[12:13], v[96:97]
	v_mul_f64_e32 v[66:67], s[0:1], v[66:67]
	v_add_f64_e32 v[124:125], v[54:55], v[62:63]
	v_fma_f64 v[104:105], v[60:61], s[6:7], v[104:105]
	v_fma_f64 v[128:129], v[128:129], s[10:11], -v[150:151]
	v_fma_f64 v[142:143], v[102:103], s[12:13], v[154:155]
	v_fma_f64 v[102:103], v[102:103], s[12:13], v[58:59]
	v_fma_f64 v[98:99], v[60:61], s[10:11], v[98:99]
	v_fma_f64 v[118:119], v[108:109], s[12:13], v[118:119]
	v_fma_f64 v[84:85], v[100:101], s[12:13], v[84:85]
	v_fma_f64 v[108:109], v[108:109], s[12:13], v[120:121]
	v_fma_f64 v[144:145], v[52:53], s[10:11], v[48:49]
	v_fma_f64 v[120:121], v[106:107], s[12:13], v[34:35]
	v_fma_f64 v[100:101], v[106:107], s[12:13], v[46:47]
	v_fma_f64 v[146:147], v[72:73], s[2:3], v[50:51]
	v_fma_f64 v[92:93], v[96:97], s[2:3], -v[92:93]
	v_fma_f64 v[106:107], v[134:135], s[14:15], v[40:41]
	v_fma_f64 v[134:135], v[86:87], s[12:13], v[42:43]
	v_fma_f64 v[96:97], v[30:31], s[10:11], -v[156:157]
	v_fma_f64 v[148:149], v[76:77], s[0:1], -v[158:159]
	v_add_f64_e32 v[48:49], v[26:27], v[38:39]
	v_fma_f64 v[150:151], v[24:25], s[6:7], -v[160:161]
	v_add_f64_e64 v[62:63], v[38:39], -v[26:27]
	v_fma_f64 v[152:153], v[78:79], s[12:13], v[56:57]
	v_add_f64_e64 v[54:55], v[82:83], -v[64:65]
	v_add_f64_e32 v[56:57], v[82:83], v[64:65]
	v_add_f64_e32 v[58:59], v[22:23], v[88:89]
	v_add_f64_e64 v[64:65], v[22:23], -v[88:89]
	v_fma_f64 v[130:131], v[20:21], s[6:7], -v[130:131]
	v_add_f64_e32 v[20:21], v[68:69], v[28:29]
	v_add_f64_e32 v[22:23], v[90:91], v[116:117]
	v_add_f64_e64 v[30:31], v[28:29], -v[68:69]
	v_add_f64_e32 v[24:25], v[112:113], v[138:139]
	v_add_f64_e32 v[26:27], v[44:45], v[110:111]
	;; [unrolled: 1-line block ×3, first 2 shown]
	v_fma_f64 v[154:155], v[52:53], s[14:15], v[36:37]
	v_add_f64_e64 v[52:53], v[32:33], -v[74:75]
	v_add_f64_e64 v[32:33], v[90:91], -v[116:117]
	;; [unrolled: 1-line block ×4, first 2 shown]
	v_add_f64_e32 v[40:41], v[245:246], v[70:71]
	v_add_f64_e64 v[70:71], v[70:71], -v[245:246]
	v_add_f64_e32 v[28:29], v[122:123], v[128:129]
	v_add_f64_e64 v[38:39], v[122:123], -v[128:129]
	v_fma_f64 v[158:159], v[72:73], s[12:13], v[66:67]
	v_fma_f64 v[136:137], v[78:79], s[12:13], v[136:137]
	;; [unrolled: 1-line block ×4, first 2 shown]
	v_fma_f64 v[126:127], v[80:81], s[0:1], -v[126:127]
	v_add_f64_e32 v[42:43], v[140:141], v[144:145]
	v_add_f64_e64 v[72:73], v[140:141], -v[144:145]
	v_add_f64_e32 v[60:61], v[132:133], v[94:95]
	v_add_f64_e32 v[44:45], v[142:143], v[146:147]
	;; [unrolled: 1-line block ×3, first 2 shown]
	v_add_f64_e64 v[74:75], v[142:143], -v[146:147]
	v_add_f64_e64 v[76:77], v[102:103], -v[92:93]
	v_add_f64_e32 v[68:69], v[84:85], v[96:97]
	v_add_f64_e64 v[78:79], v[84:85], -v[96:97]
	v_mul_u32_u24_e32 v112, 10, v169
	v_add_f64_e64 v[66:67], v[132:133], -v[94:95]
	v_add_f64_e32 v[84:85], v[120:121], v[134:135]
	v_add_f64_e64 v[94:95], v[120:121], -v[134:135]
	v_add_nc_u16 v190, v169, 0x60
	v_lshl_add_u32 v120, v112, 3, 0
	v_add_f64_e32 v[80:81], v[241:242], v[239:240]
	v_add_f64_e32 v[82:83], v[118:119], v[106:107]
	;; [unrolled: 1-line block ×4, first 2 shown]
	v_add_f64_e64 v[90:91], v[239:240], -v[241:242]
	v_and_b32_e32 v192, 0xff, v190
	v_mad_i32_i24 v199, 0xffffffb8, v169, v120
	v_add_f64_e64 v[92:93], v[118:119], -v[106:107]
	ds_store_b128 v120, v[0:3]
	ds_store_b128 v120, v[12:15] offset:16
	ds_store_b128 v120, v[4:7] offset:32
	;; [unrolled: 1-line block ×14, first 2 shown]
	v_and_b32_e32 v40, 0xff, v169
	v_add_f64_e64 v[98:99], v[108:109], -v[150:151]
	v_add_f64_e64 v[110:111], v[243:244], -v[114:115]
	v_add_f64_e32 v[108:109], v[124:125], v[130:131]
	v_add_nc_u32_e32 v210, 0xc00, v199
	v_mul_lo_u16 v68, 0xcd, v40
	v_add_nc_u32_e32 v201, 0x3800, v199
	v_add_nc_u32_e32 v203, 0x4800, v199
	;; [unrolled: 1-line block ×4, first 2 shown]
	v_lshrrev_b16 v213, 11, v68
	v_mul_lo_u16 v68, 0xcd, v192
	v_add_nc_u32_e32 v205, 0x3000, v199
	v_add_nc_u32_e32 v207, 0x5000, v199
	v_lshl_add_u32 v206, v171, 3, 0
	v_mul_lo_u16 v69, v213, 10
	v_lshrrev_b16 v198, 11, v68
	v_add_f64_e64 v[96:97], v[100:101], -v[148:149]
	v_add_f64_e32 v[100:101], v[114:115], v[243:244]
	v_add_f64_e64 v[112:113], v[156:157], -v[154:155]
	v_add_f64_e64 v[114:115], v[136:137], -v[158:159]
	v_add_nc_u32_e32 v167, 0x1800, v199
	v_add_nc_u32_e32 v204, 0x3c00, v199
	v_add_nc_u32_e32 v211, 0x2400, v199
	v_add_f64_e32 v[102:103], v[156:157], v[154:155]
	v_add_f64_e64 v[116:117], v[152:153], -v[126:127]
	v_add_f64_e64 v[118:119], v[124:125], -v[130:131]
	v_add_nc_u32_e32 v202, 0x2c00, v199
	v_add_nc_u32_e32 v200, 0x400, v199
	;; [unrolled: 1-line block ×3, first 2 shown]
	v_add_f64_e32 v[104:105], v[136:137], v[158:159]
	v_add_f64_e32 v[106:107], v[152:153], v[126:127]
	global_wb scope:SCOPE_SE
	s_wait_dscnt 0x0
	s_barrier_signal -1
	s_barrier_wait -1
	global_inv scope:SCOPE_SE
	ds_load_2addr_b64 v[0:3], v199 offset1:96
	ds_load_2addr_b64 v[28:31], v210 offset0:96 offset1:192
	ds_load_2addr_b64 v[8:11], v167 offset0:96 offset1:192
	ds_load_2addr_b64 v[132:135], v202 offset0:32 offset1:128
	ds_load_2addr_b64 v[20:23], v201 offset0:32 offset1:128
	ds_load_2addr_b64 v[146:149], v203 offset0:96 offset1:192
	ds_load_2addr_b64 v[16:19], v189 offset0:32 offset1:128
	ds_load_2addr_b64 v[12:15], v204 offset0:96 offset1:192
	ds_load_2addr_b64 v[4:7], v200 offset0:64 offset1:160
	ds_load_2addr_b64 v[24:27], v209 offset0:32 offset1:128
	ds_load_2addr_b64 v[32:35], v205 offset0:96 offset1:192
	ds_load_2addr_b64 v[44:47], v207 offset0:32 offset1:128
	ds_load_2addr_b64 v[36:39], v211 offset0:96 offset1:192
	ds_load_b64 v[150:151], v206
	ds_load_b64 v[152:153], v199 offset:22272
	ds_load_2addr_b64 v[40:43], v208 offset0:32 offset1:128
	global_wb scope:SCOPE_SE
	s_wait_dscnt 0x0
	s_barrier_signal -1
	s_barrier_wait -1
	global_inv scope:SCOPE_SE
	ds_store_b128 v120, v[48:51]
	ds_store_b128 v120, v[56:59] offset:16
	ds_store_b128 v120, v[60:63] offset:32
	;; [unrolled: 1-line block ×3, first 2 shown]
	v_sub_nc_u16 v48, v169, v69
	v_mul_lo_u16 v49, v198, 10
	v_add_nc_u32_e32 v191, 0xc0, v169
	v_add_nc_u32_e32 v212, 0x120, v169
	ds_store_b128 v120, v[64:67] offset:64
	ds_store_b128 v120, v[80:83] offset:7680
	;; [unrolled: 1-line block ×4, first 2 shown]
	v_and_b32_e32 v197, 0xff, v48
	v_sub_nc_u16 v48, v190, v49
	v_and_b32_e32 v195, 0xffff, v191
	v_and_b32_e32 v193, 0xffff, v212
	ds_store_b128 v120, v[92:95] offset:7728
	ds_store_b128 v120, v[96:99] offset:7744
	;; [unrolled: 1-line block ×4, first 2 shown]
	v_and_b32_e32 v196, 0xff, v48
	v_mul_u32_u24_e32 v49, 5, v197
	ds_store_b128 v120, v[108:111] offset:15392
	ds_store_b128 v120, v[112:115] offset:15408
	;; [unrolled: 1-line block ×3, first 2 shown]
	global_wb scope:SCOPE_SE
	s_wait_dscnt 0x0
	s_barrier_signal -1
	v_mul_u32_u24_e32 v48, 5, v196
	v_lshlrev_b32_e32 v80, 4, v49
	v_mul_u32_u24_e32 v49, 0xcccd, v195
	s_barrier_wait -1
	global_inv scope:SCOPE_SE
	v_lshlrev_b32_e32 v76, 4, v48
	v_mul_u32_u24_e32 v48, 0xcccd, v193
	v_lshrrev_b32_e32 v216, 19, v49
	s_clause 0x3
	global_load_b128 v[154:157], v80, s[4:5] offset:32
	global_load_b128 v[52:55], v80, s[4:5]
	global_load_b128 v[175:178], v76, s[4:5] offset:32
	global_load_b128 v[220:223], v76, s[4:5] offset:64
	v_lshrrev_b32_e32 v217, 19, v48
	v_mul_lo_u16 v48, v216, 10
	global_load_b128 v[181:184], v80, s[4:5] offset:64
	v_and_b32_e32 v194, 0xffff, v171
	s_mov_b32 s6, 0xe8584caa
	v_mul_lo_u16 v49, v217, 10
	v_sub_nc_u16 v48, v191, v48
	s_mov_b32 s7, 0x3febb67a
	s_mov_b32 s3, 0xbfebb67a
	s_wait_alu 0xfffe
	s_mov_b32 s2, s6
	v_sub_nc_u16 v49, v212, v49
	v_and_b32_e32 v214, 0xffff, v48
	v_and_b32_e32 v213, 0xffff, v213
	;; [unrolled: 1-line block ×3, first 2 shown]
	v_cmp_gt_u32_e64 s0, 60, v169
	v_and_b32_e32 v215, 0xffff, v49
	v_mul_u32_u24_e32 v48, 5, v214
	v_mul_u32_u24_e32 v213, 0x1e0, v213
	s_delay_alu instid0(VALU_DEP_3) | instskip(NEXT) | instid1(VALU_DEP_3)
	v_mul_u32_u24_e32 v49, 5, v215
	v_lshlrev_b32_e32 v77, 4, v48
	v_mul_u32_u24_e32 v48, 0xcccd, v194
	s_delay_alu instid0(VALU_DEP_3)
	v_lshlrev_b32_e32 v81, 4, v49
	s_clause 0x1
	global_load_b128 v[68:71], v77, s[4:5] offset:32
	global_load_b128 v[60:63], v77, s[4:5] offset:64
	v_lshrrev_b32_e32 v219, 19, v48
	s_clause 0x1
	global_load_b128 v[64:67], v81, s[4:5] offset:32
	global_load_b128 v[56:59], v81, s[4:5] offset:64
	v_mul_lo_u16 v48, v219, 10
	v_mul_u32_u24_e32 v219, 0x1e0, v219
	s_delay_alu instid0(VALU_DEP_2) | instskip(NEXT) | instid1(VALU_DEP_1)
	v_sub_nc_u16 v48, v171, v48
	v_and_b32_e32 v218, 0xffff, v48
	s_delay_alu instid0(VALU_DEP_1) | instskip(NEXT) | instid1(VALU_DEP_1)
	v_mul_u32_u24_e32 v48, 5, v218
	v_lshlrev_b32_e32 v92, 4, v48
	s_clause 0xf
	global_load_b128 v[48:51], v76, s[4:5]
	global_load_b128 v[128:131], v92, s[4:5] offset:64
	global_load_b128 v[124:127], v92, s[4:5] offset:32
	;; [unrolled: 1-line block ×3, first 2 shown]
	global_load_b128 v[116:119], v77, s[4:5]
	global_load_b128 v[108:111], v81, s[4:5]
	global_load_b128 v[112:115], v92, s[4:5]
	global_load_b128 v[104:107], v76, s[4:5] offset:16
	global_load_b128 v[72:75], v77, s[4:5] offset:16
	;; [unrolled: 1-line block ×9, first 2 shown]
	ds_load_2addr_b64 v[185:188], v202 offset0:32 offset1:128
	ds_load_2addr_b64 v[224:227], v203 offset0:96 offset1:192
	;; [unrolled: 1-line block ×4, first 2 shown]
	s_wait_loadcnt_dscnt 0x1803
	v_mul_f64_e32 v[144:145], v[185:186], v[156:157]
	v_mul_f64_e32 v[158:159], v[132:133], v[156:157]
	s_wait_loadcnt 0x16
	v_mul_f64_e32 v[228:229], v[187:188], v[177:178]
	v_mul_f64_e32 v[177:178], v[134:135], v[177:178]
	s_wait_loadcnt_dscnt 0x1502
	v_mul_f64_e32 v[234:235], v[226:227], v[222:223]
	v_mul_f64_e32 v[222:223], v[148:149], v[222:223]
	s_wait_loadcnt 0x14
	v_mul_f64_e32 v[230:231], v[224:225], v[183:184]
	v_mul_f64_e32 v[232:233], v[146:147], v[183:184]
	s_wait_loadcnt_dscnt 0x1301
	v_mul_f64_e32 v[160:161], v[136:137], v[70:71]
	v_mul_f64_e32 v[162:163], v[32:33], v[70:71]
	s_wait_loadcnt 0x12
	v_mul_f64_e32 v[183:184], v[44:45], v[62:63]
	s_wait_loadcnt 0x11
	v_mul_f64_e32 v[179:180], v[138:139], v[66:67]
	v_mul_f64_e32 v[173:174], v[34:35], v[66:67]
	v_fma_f64 v[156:157], v[132:133], v[154:155], -v[144:145]
	v_fma_f64 v[70:71], v[185:186], v[154:155], v[158:159]
	v_fma_f64 v[158:159], v[134:135], v[175:176], -v[228:229]
	v_fma_f64 v[66:67], v[187:188], v[175:176], v[177:178]
	ds_load_b64 v[177:178], v199 offset:22272
	ds_load_2addr_b64 v[132:135], v210 offset0:96 offset1:192
	v_fma_f64 v[154:155], v[146:147], v[181:182], -v[230:231]
	ds_load_2addr_b64 v[144:147], v201 offset0:32 offset1:128
	s_wait_dscnt 0x3
	v_mul_f64_e32 v[175:176], v[140:141], v[62:63]
	s_wait_loadcnt 0x10
	v_mul_f64_e32 v[185:186], v[142:143], v[58:59]
	v_mul_f64_e32 v[187:188], v[46:47], v[58:59]
	v_fma_f64 v[62:63], v[224:225], v[181:182], v[232:233]
	v_fma_f64 v[148:149], v[148:149], v[220:221], -v[234:235]
	v_fma_f64 v[58:59], v[226:227], v[220:221], v[222:223]
	ds_load_b64 v[220:221], v206
	s_wait_loadcnt_dscnt 0xe03
	v_mul_f64_e32 v[224:225], v[177:178], v[130:131]
	v_mul_f64_e32 v[130:131], v[152:153], v[130:131]
	s_wait_dscnt 0x2
	v_mul_f64_e32 v[181:182], v[132:133], v[54:55]
	v_mul_f64_e32 v[54:55], v[28:29], v[54:55]
	;; [unrolled: 1-line block ×3, first 2 shown]
	v_fma_f64 v[160:161], v[32:33], v[68:69], -v[160:161]
	v_fma_f64 v[68:69], v[136:137], v[68:69], v[162:163]
	v_fma_f64 v[162:163], v[34:35], v[64:65], -v[179:180]
	s_wait_loadcnt 0xd
	v_mul_f64_e32 v[179:180], v[20:21], v[126:127]
	s_wait_dscnt 0x1
	v_mul_f64_e32 v[126:127], v[144:145], v[126:127]
	ds_load_2addr_b64 v[32:35], v209 offset0:32 offset1:128
	v_fma_f64 v[64:65], v[138:139], v[64:65], v[173:174]
	ds_load_2addr_b64 v[136:139], v167 offset0:96 offset1:192
	v_mul_f64_e32 v[173:174], v[30:31], v[50:51]
	v_fma_f64 v[175:176], v[44:45], v[60:61], -v[175:176]
	v_fma_f64 v[60:61], v[140:141], v[60:61], v[183:184]
	s_wait_loadcnt 0xc
	v_mul_f64_e32 v[140:141], v[146:147], v[122:123]
	v_mul_f64_e32 v[122:123], v[22:23], v[122:123]
	v_fma_f64 v[183:184], v[46:47], v[56:57], -v[185:186]
	v_fma_f64 v[142:143], v[142:143], v[56:57], v[187:188]
	ds_load_2addr_b64 v[44:47], v189 offset0:32 offset1:128
	s_wait_loadcnt_dscnt 0xb02
	v_mul_f64_e32 v[185:186], v[32:33], v[118:119]
	v_mul_f64_e32 v[118:119], v[24:25], v[118:119]
	s_wait_loadcnt 0xa
	v_mul_f64_e32 v[187:188], v[34:35], v[110:111]
	v_mul_f64_e32 v[110:111], v[26:27], v[110:111]
	v_fma_f64 v[152:153], v[152:153], v[128:129], -v[224:225]
	s_wait_loadcnt_dscnt 0x901
	v_mul_f64_e32 v[224:225], v[136:137], v[114:115]
	v_fma_f64 v[128:129], v[177:178], v[128:129], v[130:131]
	v_mul_f64_e32 v[114:115], v[8:9], v[114:115]
	v_fma_f64 v[181:182], v[28:29], v[52:53], -v[181:182]
	v_fma_f64 v[132:133], v[132:133], v[52:53], v[54:55]
	ds_load_2addr_b64 v[50:53], v204 offset0:96 offset1:192
	v_fma_f64 v[222:223], v[30:31], v[48:49], -v[222:223]
	ds_load_2addr_b64 v[28:31], v211 offset0:96 offset1:192
	ds_load_2addr_b64 v[54:57], v208 offset0:32 offset1:128
	v_fma_f64 v[130:131], v[144:145], v[124:125], v[179:180]
	v_fma_f64 v[20:21], v[20:21], v[124:125], -v[126:127]
	s_wait_loadcnt_dscnt 0x803
	v_mul_f64_e32 v[124:125], v[44:45], v[106:107]
	v_mul_f64_e32 v[106:107], v[16:17], v[106:107]
	s_wait_loadcnt 0x7
	v_mul_f64_e32 v[126:127], v[46:47], v[74:75]
	v_fma_f64 v[48:49], v[134:135], v[48:49], v[173:174]
	s_wait_loadcnt 0x4
	v_mul_f64_e32 v[173:174], v[138:139], v[102:103]
	v_mul_f64_e32 v[102:103], v[10:11], v[102:103]
	v_add_f64_e32 v[179:180], v[70:71], v[62:63]
	v_mul_f64_e32 v[74:75], v[18:19], v[74:75]
	v_fma_f64 v[22:23], v[22:23], v[120:121], -v[140:141]
	v_fma_f64 v[120:121], v[146:147], v[120:121], v[122:123]
	s_wait_dscnt 0x2
	v_mul_f64_e32 v[144:145], v[52:53], v[78:79]
	v_mul_f64_e32 v[134:135], v[50:51], v[98:99]
	s_wait_loadcnt_dscnt 0x301
	v_mul_f64_e32 v[140:141], v[28:29], v[90:91]
	s_wait_loadcnt_dscnt 0x200
	v_mul_f64_e32 v[122:123], v[54:55], v[86:87]
	s_wait_loadcnt 0x1
	v_mul_f64_e32 v[146:147], v[30:31], v[82:83]
	s_wait_loadcnt 0x0
	v_mul_f64_e32 v[177:178], v[56:57], v[94:95]
	v_mul_f64_e32 v[90:91], v[36:37], v[90:91]
	v_fma_f64 v[24:25], v[24:25], v[116:117], -v[185:186]
	v_fma_f64 v[32:33], v[32:33], v[116:117], v[118:119]
	v_add_f64_e32 v[116:117], v[156:157], v[154:155]
	v_add_f64_e32 v[118:119], v[66:67], v[58:59]
	;; [unrolled: 1-line block ×3, first 2 shown]
	v_fma_f64 v[26:27], v[26:27], v[108:109], -v[187:188]
	v_add_f64_e32 v[187:188], v[68:69], v[60:61]
	v_fma_f64 v[34:35], v[34:35], v[108:109], v[110:111]
	v_add_f64_e32 v[108:109], v[160:161], v[175:176]
	v_add_f64_e32 v[110:111], v[64:65], v[142:143]
	v_fma_f64 v[224:225], v[8:9], v[112:113], -v[224:225]
	v_add_f64_e32 v[8:9], v[162:163], v[183:184]
	v_fma_f64 v[112:113], v[136:137], v[112:113], v[114:115]
	v_mul_f64_e32 v[78:79], v[14:15], v[78:79]
	v_mul_f64_e32 v[86:87], v[40:41], v[86:87]
	;; [unrolled: 1-line block ×3, first 2 shown]
	v_add_f64_e32 v[114:115], v[130:131], v[128:129]
	v_add_f64_e32 v[136:137], v[20:21], v[152:153]
	v_fma_f64 v[16:17], v[16:17], v[104:105], -v[124:125]
	v_fma_f64 v[44:45], v[44:45], v[104:105], v[106:107]
	v_fma_f64 v[18:19], v[18:19], v[72:73], -v[126:127]
	v_mul_f64_e32 v[94:95], v[42:43], v[94:95]
	v_fma_f64 v[104:105], v[10:11], v[100:101], -v[173:174]
	v_fma_f64 v[100:101], v[138:139], v[100:101], v[102:103]
	v_add_f64_e64 v[102:103], v[156:157], -v[154:155]
	v_fma_f64 v[106:107], v[179:180], -0.5, v[132:133]
	v_mul_f64_e32 v[98:99], v[12:13], v[98:99]
	v_add_f64_e64 v[124:125], v[158:159], -v[148:149]
	v_add_f64_e64 v[126:127], v[66:67], -v[58:59]
	;; [unrolled: 1-line block ×4, first 2 shown]
	v_fma_f64 v[14:15], v[14:15], v[76:77], -v[144:145]
	v_fma_f64 v[12:13], v[12:13], v[96:97], -v[134:135]
	;; [unrolled: 1-line block ×6, first 2 shown]
	v_add_f64_e64 v[122:123], v[70:71], -v[62:63]
	v_add_f64_e64 v[144:145], v[68:69], -v[60:61]
	;; [unrolled: 1-line block ×3, first 2 shown]
	v_fma_f64 v[116:117], v[116:117], -0.5, v[181:182]
	v_fma_f64 v[118:119], v[118:119], -0.5, v[48:49]
	;; [unrolled: 1-line block ×3, first 2 shown]
	v_add_f64_e64 v[179:180], v[20:21], -v[152:153]
	v_fma_f64 v[140:141], v[187:188], -0.5, v[32:33]
	v_add_f64_e64 v[185:186], v[130:131], -v[128:129]
	v_fma_f64 v[108:109], v[108:109], -0.5, v[24:25]
	v_fma_f64 v[110:111], v[110:111], -0.5, v[34:35]
	v_fma_f64 v[28:29], v[28:29], v[88:89], v[90:91]
	v_fma_f64 v[177:178], v[8:9], -0.5, v[26:27]
	v_lshlrev_b32_e32 v88, 3, v218
	v_fma_f64 v[46:47], v[46:47], v[72:73], v[74:75]
	v_fma_f64 v[52:53], v[52:53], v[76:77], v[78:79]
	;; [unrolled: 1-line block ×3, first 2 shown]
	v_fma_f64 v[114:115], v[114:115], -0.5, v[112:113]
	v_fma_f64 v[136:137], v[136:137], -0.5, v[224:225]
	v_fma_f64 v[54:55], v[54:55], v[84:85], v[86:87]
	v_mul_u32_u24_e32 v8, 0x1e0, v216
	v_mul_u32_u24_e32 v9, 0x1e0, v217
	v_fma_f64 v[56:57], v[56:57], v[92:93], v[94:95]
	v_add_f64_e32 v[72:73], v[104:105], v[22:23]
	v_lshlrev_b32_e32 v92, 3, v214
	v_lshlrev_b32_e32 v94, 3, v215
	s_wait_alu 0xfffe
	v_fma_f64 v[82:83], v[102:103], s[2:3], v[106:107]
	v_fma_f64 v[50:51], v[50:51], v[96:97], v[98:99]
	v_add3_u32 v219, 0, v219, v88
	v_add3_u32 v229, 0, v8, v92
	;; [unrolled: 1-line block ×3, first 2 shown]
	v_add_f64_e32 v[98:99], v[181:182], v[156:157]
	v_add_f64_e32 v[76:77], v[18:19], v[14:15]
	v_add_f64_e32 v[74:75], v[16:17], v[12:13]
	v_lshlrev_b32_e32 v10, 3, v197
	v_add_f64_e32 v[78:79], v[36:37], v[40:41]
	v_mul_u32_u24_e32 v11, 0x1e0, v198
	v_add_f64_e32 v[80:81], v[38:39], v[42:43]
	v_add_f64_e64 v[181:182], v[100:101], -v[120:121]
	v_add3_u32 v198, 0, v213, v10
	v_add_f64_e32 v[213:214], v[0:1], v[104:105]
	v_fma_f64 v[84:85], v[122:123], s[2:3], v[116:117]
	v_fma_f64 v[86:87], v[124:125], s[2:3], v[118:119]
	;; [unrolled: 1-line block ×3, first 2 shown]
	v_add_f64_e32 v[24:25], v[24:25], v[160:161]
	v_fma_f64 v[90:91], v[138:139], s[2:3], v[140:141]
	v_add_f64_e32 v[217:218], v[4:5], v[18:19]
	v_fma_f64 v[92:93], v[144:145], s[2:3], v[108:109]
	v_fma_f64 v[94:95], v[146:147], s[2:3], v[110:111]
	v_add_f64_e32 v[20:21], v[224:225], v[20:21]
	v_fma_f64 v[96:97], v[173:174], s[2:3], v[177:178]
	v_add_f64_e32 v[224:225], v[6:7], v[36:37]
	v_add_f64_e32 v[226:227], v[150:151], v[38:39]
	;; [unrolled: 1-line block ×4, first 2 shown]
	v_fma_f64 v[156:157], v[179:180], s[2:3], v[114:115]
	v_fma_f64 v[187:188], v[185:186], s[2:3], v[136:137]
	v_add_f64_e32 v[26:27], v[26:27], v[162:163]
	v_fma_f64 v[102:103], v[102:103], s[6:7], v[106:107]
	v_lshlrev_b32_e32 v10, 3, v196
	v_fma_f64 v[118:119], v[124:125], s[6:7], v[118:119]
	v_fma_f64 v[72:73], v[72:73], -0.5, v[0:1]
	v_add_f64_e64 v[160:161], v[46:47], -v[52:53]
	v_fma_f64 v[108:109], v[144:145], s[6:7], v[108:109]
	v_add_f64_e64 v[162:163], v[28:29], -v[54:55]
	v_add_f64_e64 v[196:197], v[44:45], -v[50:51]
	v_fma_f64 v[110:111], v[146:147], s[6:7], v[110:111]
	v_add_f64_e64 v[222:223], v[30:31], -v[56:57]
	v_fma_f64 v[136:137], v[185:186], s[6:7], v[136:137]
	v_fma_f64 v[114:115], v[179:180], s[6:7], v[114:115]
	v_fma_f64 v[4:5], v[76:77], -0.5, v[4:5]
	v_fma_f64 v[74:75], v[74:75], -0.5, v[2:3]
	v_add_f64_e32 v[98:99], v[98:99], v[154:155]
	v_fma_f64 v[6:7], v[78:79], -0.5, v[6:7]
	v_fma_f64 v[78:79], v[122:123], s[6:7], v[116:117]
	v_fma_f64 v[76:77], v[80:81], -0.5, v[150:151]
	v_mul_f64_e32 v[80:81], s[6:7], v[82:83]
	v_fma_f64 v[116:117], v[126:127], s[6:7], v[134:135]
	v_fma_f64 v[134:135], v[138:139], s[6:7], v[140:141]
	v_mul_f64_e32 v[106:107], -0.5, v[84:85]
	v_mul_f64_e32 v[122:123], s[6:7], v[86:87]
	v_mul_f64_e32 v[124:125], -0.5, v[88:89]
	v_fma_f64 v[140:141], v[173:174], s[6:7], v[177:178]
	v_mul_f64_e32 v[126:127], s[6:7], v[90:91]
	v_add_f64_e32 v[177:178], v[100:101], v[120:121]
	v_mul_f64_e32 v[138:139], -0.5, v[92:93]
	v_mul_f64_e32 v[144:145], s[6:7], v[94:95]
	v_add_f64_e32 v[154:155], v[213:214], v[22:23]
	v_mul_f64_e32 v[146:147], -0.5, v[96:97]
	v_add_f64_e32 v[24:25], v[24:25], v[175:176]
	v_add_f64_e32 v[175:176], v[217:218], v[14:15]
	;; [unrolled: 1-line block ×4, first 2 shown]
	v_mul_f64_e32 v[150:151], s[6:7], v[156:157]
	v_mul_f64_e32 v[173:174], -0.5, v[187:188]
	v_add_f64_e32 v[148:149], v[158:159], v[148:149]
	v_add_f64_e32 v[158:159], v[215:216], v[12:13]
	;; [unrolled: 1-line block ×4, first 2 shown]
	v_fma_f64 v[185:186], v[181:182], s[6:7], v[72:73]
	v_fma_f64 v[72:73], v[181:182], s[2:3], v[72:73]
	v_add_f64_e32 v[179:180], v[44:45], v[50:51]
	v_add3_u32 v228, 0, v11, v10
	ds_load_2addr_b64 v[8:11], v199 offset1:96
	v_add_f64_e32 v[48:49], v[48:49], v[66:67]
	v_add_f64_e32 v[66:67], v[46:47], v[52:53]
	v_add_f64_e64 v[12:13], v[16:17], -v[12:13]
	v_add_f64_e32 v[16:17], v[28:29], v[54:55]
	v_add_f64_e64 v[14:15], v[18:19], -v[14:15]
	v_fma_f64 v[181:182], v[196:197], s[6:7], v[74:75]
	v_fma_f64 v[74:75], v[196:197], s[2:3], v[74:75]
	;; [unrolled: 1-line block ×5, first 2 shown]
	v_fma_f64 v[80:81], v[78:79], 0.5, v[80:81]
	v_fma_f64 v[6:7], v[162:163], s[2:3], v[6:7]
	v_fma_f64 v[162:163], v[222:223], s[6:7], v[76:77]
	;; [unrolled: 1-line block ×3, first 2 shown]
	v_fma_f64 v[122:123], v[116:117], 0.5, v[122:123]
	v_fma_f64 v[124:125], v[118:119], s[6:7], v[124:125]
	v_fma_f64 v[76:77], v[222:223], s[2:3], v[76:77]
	v_fma_f64 v[126:127], v[108:109], 0.5, v[126:127]
	v_add_f64_e32 v[18:19], v[30:31], v[56:57]
	v_fma_f64 v[138:139], v[134:135], s[6:7], v[138:139]
	v_fma_f64 v[144:145], v[140:141], 0.5, v[144:145]
	s_wait_dscnt 0x0
	v_add_f64_e32 v[100:101], v[8:9], v[100:101]
	v_fma_f64 v[146:147], v[110:111], s[6:7], v[146:147]
	v_add_f64_e64 v[22:23], v[104:105], -v[22:23]
	v_add_f64_e32 v[70:71], v[132:133], v[70:71]
	v_add_f64_e32 v[104:105], v[154:155], v[98:99]
	v_add_f64_e64 v[98:99], v[154:155], -v[98:99]
	v_fma_f64 v[150:151], v[136:137], 0.5, v[150:151]
	v_fma_f64 v[173:174], v[114:115], s[6:7], v[173:174]
	v_add_f64_e32 v[154:155], v[175:176], v[24:25]
	v_add_f64_e64 v[24:25], v[175:176], -v[24:25]
	v_add_f64_e32 v[175:176], v[152:153], v[20:21]
	v_add_f64_e64 v[20:21], v[152:153], -v[20:21]
	v_add_f64_e64 v[36:37], v[36:37], -v[40:41]
	v_mul_f64_e32 v[40:41], s[2:3], v[78:79]
	v_fma_f64 v[8:9], v[177:178], -0.5, v[8:9]
	v_add_f64_e32 v[132:133], v[158:159], v[148:149]
	v_add_f64_e64 v[148:149], v[158:159], -v[148:149]
	v_add_f64_e32 v[158:159], v[183:184], v[26:27]
	v_add_f64_e64 v[26:27], v[183:184], -v[26:27]
	v_add_f64_e32 v[34:35], v[34:35], v[64:65]
	v_mul_f64_e32 v[64:65], -0.5, v[102:103]
	v_add_f64_e32 v[44:45], v[10:11], v[44:45]
	v_add_f64_e32 v[32:33], v[32:33], v[68:69]
	v_mul_f64_e32 v[68:69], s[2:3], v[116:117]
	v_fma_f64 v[10:11], v[179:180], -0.5, v[10:11]
	v_add_f64_e64 v[38:39], v[38:39], -v[42:43]
	v_mul_f64_e32 v[42:43], -0.5, v[118:119]
	v_add_f64_e32 v[152:153], v[185:186], v[80:81]
	v_add_f64_e64 v[80:81], v[185:186], -v[80:81]
	ds_load_2addr_b64 v[0:3], v200 offset0:64 offset1:160
	v_add_f64_e32 v[183:184], v[72:73], v[106:107]
	v_add_f64_e64 v[72:73], v[72:73], -v[106:107]
	v_add_f64_e32 v[106:107], v[181:182], v[122:123]
	v_add_f64_e64 v[122:123], v[181:182], -v[122:123]
	v_add_f64_e32 v[181:182], v[74:75], v[124:125]
	v_add_f64_e64 v[74:75], v[74:75], -v[124:125]
	v_add_f64_e32 v[124:125], v[196:197], v[126:127]
	v_add_f64_e32 v[185:186], v[4:5], v[138:139]
	v_add_f64_e64 v[126:127], v[196:197], -v[126:127]
	v_add_f64_e64 v[4:5], v[4:5], -v[138:139]
	v_add_f64_e32 v[138:139], v[160:161], v[144:145]
	v_add_f64_e64 v[144:145], v[160:161], -v[144:145]
	v_add_f64_e32 v[160:161], v[6:7], v[146:147]
	;; [unrolled: 2-line block ×4, first 2 shown]
	v_add_f64_e64 v[76:77], v[76:77], -v[173:174]
	v_mul_f64_e32 v[102:103], s[2:3], v[140:141]
	s_wait_dscnt 0x0
	v_add_f64_e32 v[46:47], v[0:1], v[46:47]
	v_add_f64_e32 v[28:29], v[2:3], v[28:29]
	v_fma_f64 v[0:1], v[66:67], -0.5, v[0:1]
	v_fma_f64 v[2:3], v[16:17], -0.5, v[2:3]
	v_mul_f64_e32 v[16:17], s[2:3], v[108:109]
	v_mul_f64_e32 v[66:67], -0.5, v[134:135]
	v_mul_f64_e32 v[108:109], -0.5, v[110:111]
	v_add_f64_e32 v[30:31], v[220:221], v[30:31]
	v_add_f64_e32 v[78:79], v[112:113], v[130:131]
	v_fma_f64 v[18:19], v[18:19], -0.5, v[220:221]
	v_mul_f64_e32 v[110:111], s[2:3], v[136:137]
	v_mul_f64_e32 v[112:113], -0.5, v[114:115]
	global_wb scope:SCOPE_SE
	s_barrier_signal -1
	s_barrier_wait -1
	global_inv scope:SCOPE_SE
	ds_store_2addr_b64 v198, v[104:105], v[152:153] offset1:10
	ds_store_2addr_b64 v198, v[183:184], v[98:99] offset0:20 offset1:30
	ds_store_2addr_b64 v198, v[80:81], v[72:73] offset0:40 offset1:50
	ds_store_2addr_b64 v228, v[132:133], v[106:107] offset1:10
	ds_store_2addr_b64 v228, v[181:182], v[148:149] offset0:20 offset1:30
	ds_store_2addr_b64 v228, v[122:123], v[74:75] offset0:40 offset1:50
	;; [unrolled: 3-line block ×5, first 2 shown]
	v_add_f64_e32 v[4:5], v[100:101], v[120:121]
	v_add_f64_e32 v[6:7], v[70:71], v[62:63]
	v_fma_f64 v[20:21], v[82:83], 0.5, v[40:41]
	v_fma_f64 v[24:25], v[22:23], s[2:3], v[8:9]
	v_fma_f64 v[22:23], v[22:23], s[6:7], v[8:9]
	;; [unrolled: 1-line block ×3, first 2 shown]
	v_add_f64_e32 v[40:41], v[44:45], v[50:51]
	v_add_f64_e32 v[44:45], v[48:49], v[58:59]
	v_fma_f64 v[48:49], v[86:87], 0.5, v[68:69]
	v_fma_f64 v[50:51], v[12:13], s[2:3], v[10:11]
	v_fma_f64 v[12:13], v[12:13], s[6:7], v[10:11]
	;; [unrolled: 1-line block ×3, first 2 shown]
	v_add_f64_e32 v[32:33], v[32:33], v[60:61]
	v_add_f64_e32 v[34:35], v[34:35], v[142:143]
	v_fma_f64 v[60:61], v[94:95], 0.5, v[102:103]
	v_add_f64_e32 v[46:47], v[46:47], v[52:53]
	v_add_f64_e32 v[28:29], v[28:29], v[54:55]
	v_fma_f64 v[52:53], v[14:15], s[2:3], v[0:1]
	v_fma_f64 v[14:15], v[14:15], s[6:7], v[0:1]
	v_fma_f64 v[16:17], v[90:91], 0.5, v[16:17]
	v_fma_f64 v[58:59], v[92:93], s[2:3], v[66:67]
	v_fma_f64 v[54:55], v[36:37], s[2:3], v[2:3]
	;; [unrolled: 1-line block ×4, first 2 shown]
	v_add_f64_e32 v[30:31], v[30:31], v[56:57]
	v_add_f64_e32 v[56:57], v[78:79], v[128:129]
	v_fma_f64 v[64:65], v[38:39], s[2:3], v[18:19]
	v_fma_f64 v[66:67], v[156:157], 0.5, v[110:111]
	v_fma_f64 v[18:19], v[38:39], s[6:7], v[18:19]
	v_fma_f64 v[38:39], v[187:188], s[2:3], v[112:113]
	global_wb scope:SCOPE_SE
	s_wait_dscnt 0x0
	s_barrier_signal -1
	s_barrier_wait -1
	global_inv scope:SCOPE_SE
	v_mov_b32_e32 v174, 0
	ds_load_b64 v[175:176], v206
	ds_load_b64 v[177:178], v199 offset:22272
	ds_load_2addr_b64 v[0:3], v199 offset1:96
	ds_load_2addr_b64 v[160:163], v210 offset0:96 offset1:192
	ds_load_2addr_b64 v[8:11], v167 offset0:96 offset1:192
	;; [unrolled: 1-line block ×3, first 2 shown]
	v_subrev_nc_u32_e32 v108, 60, v169
	v_lshl_add_u32 v215, v169, 3, 0
	v_add_f64_e32 v[68:69], v[4:5], v[6:7]
	v_add_f64_e64 v[72:73], v[4:5], -v[6:7]
	v_add_f64_e32 v[70:71], v[24:25], v[20:21]
	v_add_f64_e64 v[76:77], v[24:25], -v[20:21]
	;; [unrolled: 2-line block ×6, first 2 shown]
	s_wait_alu 0xf1ff
	v_cndmask_b32_e64 v218, v108, v169, s0
	v_add_f64_e32 v[88:89], v[46:47], v[32:33]
	v_add_f64_e64 v[90:91], v[46:47], -v[32:33]
	v_add_f64_e32 v[96:97], v[28:29], v[34:35]
	v_add_f64_e64 v[98:99], v[28:29], -v[34:35]
	;; [unrolled: 2-line block ×6, first 2 shown]
	v_add_f64_e32 v[102:103], v[30:31], v[56:57]
	v_add_f64_e32 v[104:105], v[64:65], v[66:67]
	v_add_f64_e64 v[56:57], v[30:31], -v[56:57]
	v_add_f64_e64 v[64:65], v[64:65], -v[66:67]
	v_add_f64_e32 v[66:67], v[18:19], v[38:39]
	v_add_f64_e64 v[106:107], v[18:19], -v[38:39]
	ds_load_2addr_b64 v[28:31], v201 offset0:32 offset1:128
	ds_load_2addr_b64 v[44:47], v203 offset0:96 offset1:192
	;; [unrolled: 1-line block ×10, first 2 shown]
	global_wb scope:SCOPE_SE
	s_wait_dscnt 0x0
	s_barrier_signal -1
	s_barrier_wait -1
	global_inv scope:SCOPE_SE
	ds_store_2addr_b64 v198, v[68:69], v[70:71] offset1:10
	ds_store_2addr_b64 v198, v[74:75], v[72:73] offset0:20 offset1:30
	ds_store_2addr_b64 v198, v[76:77], v[78:79] offset0:40 offset1:50
	v_mul_lo_u16 v68, 0x89, v192
	ds_store_2addr_b64 v228, v[80:81], v[82:83] offset1:10
	ds_store_2addr_b64 v228, v[50:51], v[84:85] offset0:20 offset1:30
	ds_store_2addr_b64 v228, v[48:49], v[86:87] offset0:40 offset1:50
	v_lshrrev_b16 v216, 13, v68
	v_mul_i32_i24_e32 v173, 5, v218
	s_delay_alu instid0(VALU_DEP_2) | instskip(NEXT) | instid1(VALU_DEP_2)
	v_mul_lo_u16 v50, v216, 60
	v_lshlrev_b64_e32 v[48:49], 4, v[173:174]
	v_add_nc_u32_e32 v173, 0xffffffb8, v169
	ds_store_2addr_b64 v229, v[88:89], v[92:93] offset1:10
	v_and_b32_e32 v216, 0xffff, v216
	v_sub_nc_u16 v50, v190, v50
	ds_store_2addr_b64 v229, v[94:95], v[90:91] offset0:20 offset1:30
	v_add_co_u32 v80, s0, s4, v48
	s_wait_alu 0xf1ff
	v_add_co_ci_u32_e64 v81, s0, s5, v49, s0
	v_and_b32_e32 v217, 0xff, v50
	ds_store_2addr_b64 v229, v[52:53], v[58:59] offset0:40 offset1:50
	ds_store_2addr_b64 v230, v[96:97], v[100:101] offset1:10
	ds_store_2addr_b64 v230, v[60:61], v[98:99] offset0:20 offset1:30
	ds_store_2addr_b64 v230, v[54:55], v[62:63] offset0:40 offset1:50
	ds_store_2addr_b64 v219, v[102:103], v[104:105] offset1:10
	ds_store_2addr_b64 v219, v[66:67], v[56:57] offset0:20 offset1:30
	ds_store_2addr_b64 v219, v[64:65], v[106:107] offset0:40 offset1:50
	global_wb scope:SCOPE_SE
	s_wait_dscnt 0x0
	s_barrier_signal -1
	v_mul_u32_u24_e32 v48, 5, v217
	s_barrier_wait -1
	global_inv scope:SCOPE_SE
	s_clause 0x2
	global_load_b128 v[183:186], v[80:81], off offset:800
	global_load_b128 v[152:155], v[80:81], off offset:832
	;; [unrolled: 1-line block ×3, first 2 shown]
	v_lshlrev_b32_e32 v82, 4, v48
	v_mul_u32_u24_e32 v48, 0x8889, v195
	v_mul_u32_u24_e32 v49, 0x8889, v193
	v_cmp_lt_u32_e64 s0, 59, v169
	v_mul_u32_u24_e32 v216, 0xb40, v216
	s_clause 0x1
	global_load_b128 v[225:228], v82, s[4:5] offset:800
	global_load_b128 v[148:151], v82, s[4:5] offset:832
	v_lshrrev_b32_e32 v219, 21, v48
	global_load_b128 v[56:59], v82, s[4:5] offset:864
	v_lshrrev_b32_e32 v221, 21, v49
	v_lshlrev_b32_e32 v217, 3, v217
	v_mul_lo_u16 v48, v219, 60
	s_delay_alu instid0(VALU_DEP_3) | instskip(NEXT) | instid1(VALU_DEP_2)
	v_mul_lo_u16 v49, v221, 60
	v_sub_nc_u16 v48, v191, v48
	s_delay_alu instid0(VALU_DEP_2) | instskip(NEXT) | instid1(VALU_DEP_2)
	v_sub_nc_u16 v64, v212, v49
	v_and_b32_e32 v220, 0xffff, v48
	s_delay_alu instid0(VALU_DEP_2) | instskip(NEXT) | instid1(VALU_DEP_2)
	v_and_b32_e32 v222, 0xffff, v64
	v_mul_u32_u24_e32 v48, 5, v220
	s_delay_alu instid0(VALU_DEP_2) | instskip(NEXT) | instid1(VALU_DEP_2)
	v_mul_u32_u24_e32 v68, 5, v222
	v_lshlrev_b32_e32 v100, 4, v48
	s_clause 0x3
	global_load_b128 v[52:55], v82, s[4:5] offset:816
	global_load_b128 v[48:51], v100, s[4:5] offset:816
	;; [unrolled: 1-line block ×4, first 2 shown]
	v_lshlrev_b32_e32 v101, 4, v68
	v_mul_u32_u24_e32 v68, 0x8889, v194
	global_load_b128 v[76:79], v101, s[4:5] offset:832
	v_lshrrev_b32_e32 v224, 21, v68
	s_delay_alu instid0(VALU_DEP_1) | instskip(NEXT) | instid1(VALU_DEP_1)
	v_mul_lo_u16 v68, v224, 60
	v_sub_nc_u16 v68, v171, v68
	s_delay_alu instid0(VALU_DEP_1) | instskip(SKIP_2) | instid1(VALU_DEP_1)
	v_and_b32_e32 v223, 0xffff, v68
	global_load_b128 v[68:71], v101, s[4:5] offset:864
	v_mul_u32_u24_e32 v83, 5, v223
	v_lshlrev_b32_e32 v104, 4, v83
	s_clause 0xc
	global_load_b128 v[120:123], v[80:81], off offset:848
	global_load_b128 v[124:127], v104, s[4:5] offset:832
	global_load_b128 v[88:91], v82, s[4:5] offset:848
	global_load_b128 v[92:95], v100, s[4:5] offset:848
	global_load_b128 v[96:99], v[80:81], off offset:816
	global_load_b128 v[80:83], v101, s[4:5] offset:816
	global_load_b128 v[84:87], v101, s[4:5] offset:848
	;; [unrolled: 1-line block ×8, first 2 shown]
	ds_load_2addr_b64 v[229:232], v210 offset0:96 offset1:192
	ds_load_2addr_b64 v[156:159], v202 offset0:32 offset1:128
	;; [unrolled: 1-line block ×5, first 2 shown]
	s_wait_loadcnt_dscnt 0x1804
	v_mul_f64_e32 v[187:188], v[229:230], v[185:186]
	v_mul_f64_e32 v[193:194], v[160:161], v[185:186]
	s_wait_loadcnt_dscnt 0x1703
	v_mul_f64_e32 v[191:192], v[156:157], v[154:155]
	v_mul_f64_e32 v[195:196], v[132:133], v[154:155]
	;; [unrolled: 3-line block ×3, first 2 shown]
	s_wait_loadcnt 0x15
	v_mul_f64_e32 v[213:214], v[231:232], v[227:228]
	v_mul_f64_e32 v[227:228], v[162:163], v[227:228]
	s_wait_loadcnt 0x14
	v_mul_f64_e32 v[197:198], v[158:159], v[150:151]
	s_wait_loadcnt 0x13
	v_mul_f64_e32 v[185:186], v[138:139], v[58:59]
	v_mul_f64_e32 v[189:190], v[134:135], v[150:151]
	v_fma_f64 v[62:63], v[160:161], v[183:184], -v[187:188]
	v_fma_f64 v[154:155], v[229:230], v[183:184], v[193:194]
	v_mul_f64_e32 v[187:188], v[46:47], v[58:59]
	s_wait_loadcnt_dscnt 0x1201
	v_mul_f64_e32 v[183:184], v[140:141], v[54:55]
	s_wait_loadcnt 0x11
	v_mul_f64_e32 v[160:161], v[142:143], v[50:51]
	v_mul_f64_e32 v[193:194], v[42:43], v[50:51]
	v_fma_f64 v[191:192], v[132:133], v[152:153], -v[191:192]
	v_fma_f64 v[50:51], v[156:157], v[152:153], v[195:196]
	v_fma_f64 v[58:59], v[162:163], v[225:226], -v[213:214]
	v_mul_f64_e32 v[162:163], v[40:41], v[54:55]
	ds_load_2addr_b64 v[150:153], v207 offset0:32 offset1:128
	s_wait_loadcnt_dscnt 0x1001
	v_mul_f64_e32 v[195:196], v[144:145], v[66:67]
	v_mul_f64_e32 v[66:67], v[36:37], v[66:67]
	v_fma_f64 v[54:55], v[231:232], v[225:226], v[227:228]
	v_fma_f64 v[156:157], v[134:135], v[148:149], -v[197:198]
	s_wait_loadcnt 0xe
	v_mul_f64_e32 v[197:198], v[146:147], v[78:79]
	v_mul_f64_e32 v[78:79], v[38:39], v[78:79]
	v_fma_f64 v[225:226], v[44:45], v[60:61], -v[179:180]
	v_fma_f64 v[60:61], v[136:137], v[60:61], v[181:182]
	v_fma_f64 v[181:182], v[46:47], v[56:57], -v[185:186]
	ds_load_2addr_b64 v[134:137], v201 offset0:32 offset1:128
	ds_load_2addr_b64 v[44:47], v204 offset0:96 offset1:192
	v_fma_f64 v[148:149], v[158:159], v[148:149], v[189:190]
	s_wait_alu 0xf1ff
	v_cndmask_b32_e64 v190, 0, 0xb40, s0
	v_cmp_gt_u32_e64 s0, 0x48, v169
	v_add_nc_u32_e32 v189, 0x2a0, v169
	v_lshl_add_u32 v213, v168, 3, 0
	v_lshl_add_u32 v214, v166, 3, 0
	v_lshlrev_b64_e32 v[132:133], 4, v[169:170]
	s_wait_alu 0xf1ff
	v_cndmask_b32_e64 v173, v173, v212, s0
	s_wait_dscnt 0x2
	v_mul_f64_e32 v[185:186], v[150:151], v[74:75]
	v_mul_f64_e32 v[74:75], v[32:33], v[74:75]
	v_lshlrev_b32_e32 v212, 3, v218
	v_lshlrev_b32_e32 v218, 3, v223
	v_add_nc_u32_e32 v170, 0x1000, v215
	v_add_nc_u32_e32 v179, 0x100, v215
	;; [unrolled: 1-line block ×3, first 2 shown]
	v_add3_u32 v227, 0, v190, v212
	v_mul_u32_u24_e32 v190, 0xb40, v224
	v_fma_f64 v[56:57], v[138:139], v[56:57], v[187:188]
	v_fma_f64 v[183:184], v[40:41], v[52:53], -v[183:184]
	s_wait_loadcnt 0xd
	v_mul_f64_e32 v[187:188], v[152:153], v[70:71]
	v_mul_f64_e32 v[70:71], v[34:35], v[70:71]
	v_add3_u32 v228, 0, v190, v218
	v_mul_u32_u24_e32 v190, 0xb40, v219
	v_lshlrev_b32_e32 v219, 3, v220
	v_fma_f64 v[52:53], v[140:141], v[52:53], v[162:163]
	ds_load_2addr_b64 v[138:141], v167 offset0:96 offset1:192
	v_fma_f64 v[195:196], v[36:37], v[64:65], -v[195:196]
	v_fma_f64 v[64:65], v[144:145], v[64:65], v[66:67]
	ds_load_b64 v[144:145], v199 offset:22272
	v_fma_f64 v[162:163], v[42:43], v[48:49], -v[160:161]
	v_fma_f64 v[48:49], v[142:143], v[48:49], v[193:194]
	s_wait_loadcnt_dscnt 0xc03
	v_mul_f64_e32 v[142:143], v[136:137], v[122:123]
	v_mul_f64_e32 v[122:123], v[30:31], v[122:123]
	s_wait_loadcnt 0xb
	v_mul_f64_e32 v[193:194], v[134:135], v[126:127]
	v_mul_f64_e32 v[66:67], v[28:29], v[126:127]
	v_fma_f64 v[126:127], v[38:39], v[76:77], -v[197:198]
	v_fma_f64 v[76:77], v[146:147], v[76:77], v[78:79]
	ds_load_2addr_b64 v[40:43], v211 offset0:96 offset1:192
	ds_load_2addr_b64 v[36:39], v209 offset0:32 offset1:128
	;; [unrolled: 1-line block ×3, first 2 shown]
	s_wait_loadcnt_dscnt 0xa05
	v_mul_f64_e32 v[197:198], v[44:45], v[90:91]
	s_wait_loadcnt 0x9
	v_mul_f64_e32 v[211:212], v[46:47], v[94:95]
	v_mul_u32_u24_e32 v218, 0xb40, v221
	v_add3_u32 v221, 0, v190, v219
	v_lshlrev_b32_e32 v220, 3, v222
	s_wait_loadcnt_dscnt 0x804
	v_mul_f64_e32 v[78:79], v[140:141], v[98:99]
	v_fma_f64 v[32:33], v[32:33], v[72:73], -v[185:186]
	v_fma_f64 v[72:73], v[150:151], v[72:73], v[74:75]
	v_mul_f64_e32 v[74:75], v[10:11], v[98:99]
	ds_load_b64 v[98:99], v206
	s_wait_loadcnt_dscnt 0x504
	v_mul_f64_e32 v[150:151], v[144:145], v[130:131]
	v_mul_f64_e32 v[130:131], v[177:178], v[130:131]
	v_add3_u32 v220, 0, v218, v220
	v_add_nc_u32_e32 v222, 0x400, v227
	v_add_nc_u32_e32 v229, 0x400, v221
	v_fma_f64 v[34:35], v[34:35], v[68:69], -v[187:188]
	v_fma_f64 v[68:69], v[152:153], v[68:69], v[70:71]
	v_mul_f64_e32 v[70:71], v[24:25], v[90:91]
	v_mul_f64_e32 v[90:91], v[26:27], v[94:95]
	s_wait_loadcnt_dscnt 0x402
	v_mul_f64_e32 v[94:95], v[36:37], v[118:119]
	v_mul_f64_e32 v[146:147], v[40:41], v[82:83]
	;; [unrolled: 1-line block ×4, first 2 shown]
	s_wait_dscnt 0x1
	v_mul_f64_e32 v[223:224], v[158:159], v[86:87]
	v_mul_f64_e32 v[86:87], v[16:17], v[86:87]
	v_add_nc_u32_e32 v230, 0x400, v220
	v_fma_f64 v[30:31], v[30:31], v[120:121], -v[142:143]
	v_fma_f64 v[120:121], v[136:137], v[120:121], v[122:123]
	v_fma_f64 v[28:29], v[28:29], v[124:125], -v[193:194]
	s_wait_loadcnt 0x2
	v_mul_f64_e32 v[136:137], v[138:139], v[110:111]
	v_fma_f64 v[66:67], v[134:135], v[124:125], v[66:67]
	s_wait_loadcnt 0x1
	v_mul_f64_e32 v[124:125], v[42:43], v[102:103]
	v_mul_f64_e32 v[102:103], v[14:15], v[102:103]
	s_wait_loadcnt 0x0
	v_mul_f64_e32 v[142:143], v[160:161], v[106:107]
	v_mul_f64_e32 v[106:107], v[18:19], v[106:107]
	;; [unrolled: 1-line block ×5, first 2 shown]
	v_fma_f64 v[152:153], v[24:25], v[88:89], -v[197:198]
	v_fma_f64 v[185:186], v[26:27], v[92:93], -v[211:212]
	;; [unrolled: 1-line block ×3, first 2 shown]
	v_add3_u32 v198, 0, v216, v217
	v_add_co_u32 v134, s0, s4, v132
	v_fma_f64 v[74:75], v[140:141], v[96:97], v[74:75]
	v_fma_f64 v[96:97], v[177:178], v[128:129], -v[150:151]
	v_fma_f64 v[128:129], v[144:145], v[128:129], v[130:131]
	v_add_f64_e64 v[140:141], v[148:149], -v[56:57]
	v_add_f64_e64 v[150:151], v[195:196], -v[32:33]
	s_wait_alu 0xf1ff
	v_add_co_ci_u32_e64 v135, s0, s5, v133, s0
	v_add_f64_e32 v[130:131], v[76:77], v[68:69]
	v_fma_f64 v[44:45], v[44:45], v[88:89], v[70:71]
	v_fma_f64 v[46:47], v[46:47], v[92:93], v[90:91]
	v_fma_f64 v[20:21], v[20:21], v[116:117], -v[94:95]
	v_add_f64_e32 v[94:95], v[191:192], v[225:226]
	v_fma_f64 v[40:41], v[40:41], v[80:81], v[82:83]
	v_fma_f64 v[36:37], v[36:37], v[116:117], v[118:119]
	v_fma_f64 v[146:147], v[12:13], v[80:81], -v[146:147]
	v_fma_f64 v[16:17], v[16:17], v[84:85], -v[223:224]
	v_add_f64_e32 v[118:119], v[126:127], v[34:35]
	ds_load_2addr_b64 v[10:13], v199 offset1:96
	ds_load_2addr_b64 v[24:27], v200 offset0:64 offset1:160
	v_fma_f64 v[80:81], v[158:159], v[84:85], v[86:87]
	v_add_f64_e32 v[92:93], v[62:63], v[191:192]
	v_add_f64_e64 v[187:188], v[76:77], -v[68:69]
	v_fma_f64 v[8:9], v[8:9], v[108:109], -v[136:137]
	v_add_f64_e64 v[136:137], v[156:157], -v[181:182]
	v_fma_f64 v[14:15], v[14:15], v[100:101], -v[124:125]
	v_fma_f64 v[42:43], v[42:43], v[100:101], v[102:103]
	v_add_f64_e32 v[100:101], v[50:51], v[60:61]
	v_fma_f64 v[18:19], v[18:19], v[104:105], -v[142:143]
	v_fma_f64 v[82:83], v[160:161], v[104:105], v[106:107]
	v_add_f64_e32 v[104:105], v[148:149], v[56:57]
	v_add_f64_e32 v[102:103], v[156:157], v[181:182]
	v_fma_f64 v[22:23], v[22:23], v[112:113], -v[122:123]
	v_fma_f64 v[38:39], v[38:39], v[112:113], v[114:115]
	v_fma_f64 v[70:71], v[138:139], v[108:109], v[110:111]
	v_add_f64_e32 v[106:107], v[195:196], v[32:33]
	v_add_f64_e32 v[112:113], v[64:65], v[72:73]
	v_add_f64_e32 v[84:85], v[78:79], v[30:31]
	v_add_f64_e64 v[108:109], v[191:192], -v[225:226]
	v_add_f64_e32 v[138:139], v[28:29], v[96:97]
	v_add_f64_e32 v[142:143], v[66:67], v[128:129]
	v_add_f64_e32 v[110:111], v[0:1], v[78:79]
	v_add_f64_e64 v[114:115], v[50:51], -v[60:61]
	;; [unrolled: 4-line block ×3, first 2 shown]
	v_add_f64_e64 v[160:161], v[64:65], -v[72:73]
	s_wait_dscnt 0x1
	v_add_f64_e32 v[211:212], v[10:11], v[74:75]
	v_add_f64_e32 v[74:75], v[74:75], v[120:121]
	;; [unrolled: 1-line block ×3, first 2 shown]
	v_fma_f64 v[62:63], v[94:95], -0.5, v[62:63]
	v_add_f64_e64 v[196:197], v[66:67], -v[128:129]
	v_add_f64_e32 v[50:51], v[154:155], v[50:51]
	v_add_f64_e32 v[64:65], v[36:37], v[64:65]
	;; [unrolled: 1-line block ×7, first 2 shown]
	v_add_f64_e64 v[78:79], v[78:79], -v[30:31]
	v_add_f64_e32 v[190:191], v[8:9], v[28:29]
	v_add_f64_e64 v[28:29], v[28:29], -v[96:97]
	v_add_f64_e32 v[94:95], v[48:49], v[46:47]
	v_add_f64_e32 v[216:217], v[52:53], v[44:45]
	v_fma_f64 v[100:101], v[100:101], -0.5, v[154:155]
	v_add_f64_e32 v[192:193], v[14:15], v[18:19]
	v_add_f64_e32 v[218:219], v[12:13], v[52:53]
	v_fma_f64 v[54:55], v[104:105], -0.5, v[54:55]
	v_fma_f64 v[58:59], v[102:103], -0.5, v[58:59]
	v_add_f64_e32 v[177:178], v[22:23], v[126:127]
	v_add_f64_e64 v[126:127], v[126:127], -v[34:35]
	v_add_f64_e32 v[76:77], v[38:39], v[76:77]
	v_fma_f64 v[20:21], v[106:107], -0.5, v[20:21]
	v_fma_f64 v[38:39], v[130:131], -0.5, v[38:39]
	;; [unrolled: 1-line block ×5, first 2 shown]
	v_add_f64_e32 v[66:67], v[70:71], v[66:67]
	v_fma_f64 v[70:71], v[142:143], -0.5, v[70:71]
	v_fma_f64 v[0:1], v[84:85], -0.5, v[0:1]
	v_add_f64_e32 v[84:85], v[92:93], v[225:226]
	v_add_f64_e32 v[104:105], v[42:43], v[82:83]
	;; [unrolled: 1-line block ×4, first 2 shown]
	v_fma_f64 v[2:3], v[86:87], -0.5, v[2:3]
	v_add_f64_e32 v[86:87], v[124:125], v[181:182]
	v_add_f64_e64 v[52:53], v[52:53], -v[44:45]
	v_add_f64_e32 v[32:33], v[144:145], v[32:33]
	v_fma_f64 v[110:111], v[114:115], s[2:3], v[62:63]
	v_add_f64_e32 v[130:131], v[98:99], v[42:43]
	v_add_f64_e64 v[142:143], v[146:147], -v[16:17]
	v_fma_f64 v[10:11], v[74:75], -0.5, v[10:11]
	v_fma_f64 v[62:63], v[114:115], s[6:7], v[62:63]
	s_wait_dscnt 0x0
	v_add_f64_e32 v[106:107], v[24:25], v[48:49]
	v_add_f64_e32 v[50:51], v[50:51], v[60:61]
	v_add_f64_e32 v[64:65], v[64:65], v[72:73]
	v_fma_f64 v[6:7], v[90:91], -0.5, v[6:7]
	v_add_f64_e32 v[90:91], v[156:157], v[185:186]
	v_add_f64_e32 v[92:93], v[190:191], v[96:97]
	;; [unrolled: 1-line block ×4, first 2 shown]
	v_add_f64_e64 v[48:49], v[48:49], -v[46:47]
	v_fma_f64 v[96:97], v[108:109], s[2:3], v[100:101]
	v_fma_f64 v[72:73], v[108:109], s[6:7], v[100:101]
	v_add_f64_e64 v[40:41], v[40:41], -v[80:81]
	v_fma_f64 v[124:125], v[136:137], s[2:3], v[54:55]
	v_fma_f64 v[144:145], v[140:141], s[2:3], v[58:59]
	v_add_f64_e32 v[34:35], v[177:178], v[34:35]
	v_fma_f64 v[58:59], v[140:141], s[6:7], v[58:59]
	v_fma_f64 v[4:5], v[88:89], -0.5, v[4:5]
	v_fma_f64 v[146:147], v[160:161], s[2:3], v[20:21]
	v_fma_f64 v[74:75], v[126:127], s[2:3], v[38:39]
	v_fma_f64 v[60:61], v[150:151], s[2:3], v[36:37]
	v_add_f64_e32 v[88:89], v[122:123], v[152:153]
	v_fma_f64 v[154:155], v[196:197], s[2:3], v[8:9]
	v_fma_f64 v[54:55], v[136:137], s[6:7], v[54:55]
	v_add_f64_e64 v[112:113], v[183:184], -v[152:153]
	v_fma_f64 v[152:153], v[187:188], s[2:3], v[22:23]
	v_fma_f64 v[20:21], v[160:161], s[6:7], v[20:21]
	v_add_f64_e64 v[42:43], v[42:43], -v[82:83]
	v_fma_f64 v[122:123], v[192:193], -0.5, v[175:176]
	v_add_f64_e32 v[56:57], v[148:149], v[56:57]
	v_fma_f64 v[148:149], v[28:29], s[2:3], v[70:71]
	v_fma_f64 v[36:37], v[150:151], s[6:7], v[36:37]
	;; [unrolled: 1-line block ×6, first 2 shown]
	v_fma_f64 v[24:25], v[94:95], -0.5, v[24:25]
	v_fma_f64 v[94:95], v[104:105], -0.5, v[98:99]
	v_mul_f64_e32 v[98:99], -0.5, v[110:111]
	v_fma_f64 v[26:27], v[102:103], -0.5, v[26:27]
	v_add_f64_e32 v[194:195], v[175:176], v[14:15]
	v_add_f64_e32 v[68:69], v[76:77], v[68:69]
	;; [unrolled: 1-line block ×4, first 2 shown]
	v_add_f64_e64 v[30:31], v[30:31], -v[84:85]
	v_fma_f64 v[84:85], v[52:53], s[6:7], v[2:3]
	v_fma_f64 v[2:3], v[52:53], s[2:3], v[2:3]
	v_mul_f64_e32 v[130:131], s[2:3], v[62:63]
	v_mul_f64_e32 v[70:71], s[6:7], v[96:97]
	v_add_f64_e32 v[46:47], v[106:107], v[46:47]
	v_mul_f64_e32 v[136:137], -0.5, v[72:73]
	v_mul_f64_e32 v[102:103], s[6:7], v[124:125]
	v_mul_f64_e32 v[104:105], -0.5, v[144:145]
	v_fma_f64 v[12:13], v[216:217], -0.5, v[12:13]
	v_add_f64_e32 v[66:67], v[66:67], v[128:129]
	v_add_f64_e32 v[128:129], v[90:91], v[32:33]
	v_mul_f64_e32 v[108:109], -0.5, v[146:147]
	v_mul_f64_e32 v[52:53], s[6:7], v[74:75]
	v_mul_f64_e32 v[106:107], s[6:7], v[60:61]
	v_add_f64_e64 v[32:33], v[90:91], -v[32:33]
	v_mul_f64_e32 v[126:127], -0.5, v[154:155]
	v_add_f64_e32 v[90:91], v[16:17], v[34:35]
	v_add_f64_e64 v[16:17], v[16:17], -v[34:35]
	v_mul_f64_e32 v[34:35], s[2:3], v[58:59]
	v_add_f64_e32 v[114:115], v[88:89], v[86:87]
	v_add_f64_e64 v[86:87], v[88:89], -v[86:87]
	v_fma_f64 v[88:89], v[48:49], s[6:7], v[4:5]
	v_fma_f64 v[4:5], v[48:49], s[2:3], v[4:5]
	;; [unrolled: 1-line block ×4, first 2 shown]
	v_mul_f64_e32 v[40:41], -0.5, v[54:55]
	v_fma_f64 v[82:83], v[116:117], s[6:7], v[0:1]
	v_fma_f64 v[0:1], v[116:117], s[2:3], v[0:1]
	v_mul_f64_e32 v[116:117], -0.5, v[152:153]
	v_add_f64_e64 v[138:139], v[162:163], -v[185:186]
	v_add_f64_e32 v[44:45], v[218:219], v[44:45]
	v_mul_f64_e32 v[156:157], s[2:3], v[20:21]
	v_add_f64_e32 v[80:81], v[118:119], v[80:81]
	v_mul_f64_e32 v[118:119], s[6:7], v[148:149]
	v_fma_f64 v[140:141], v[42:43], s[6:7], v[122:123]
	v_fma_f64 v[42:43], v[42:43], s[2:3], v[122:123]
	v_mul_f64_e32 v[122:123], -0.5, v[36:37]
	v_mul_f64_e32 v[158:159], s[2:3], v[22:23]
	v_mul_f64_e32 v[160:161], -0.5, v[38:39]
	v_add_f64_e64 v[14:15], v[14:15], -v[18:19]
	v_mul_f64_e32 v[162:163], s[2:3], v[8:9]
	v_mul_f64_e32 v[175:176], -0.5, v[28:29]
	v_fma_f64 v[62:63], v[62:63], 0.5, v[70:71]
	v_fma_f64 v[70:71], v[72:73], s[6:7], v[98:99]
	v_fma_f64 v[58:59], v[58:59], 0.5, v[102:103]
	v_fma_f64 v[54:55], v[54:55], s[6:7], v[104:105]
	v_add_f64_e32 v[18:19], v[194:195], v[18:19]
	v_add_f64_e32 v[120:121], v[211:212], v[120:121]
	v_fma_f64 v[72:73], v[78:79], s[2:3], v[10:11]
	v_fma_f64 v[36:37], v[36:37], s[6:7], v[108:109]
	v_fma_f64 v[22:23], v[22:23], 0.5, v[52:53]
	v_fma_f64 v[96:97], v[96:97], 0.5, v[130:131]
	v_fma_f64 v[10:11], v[78:79], s[6:7], v[10:11]
	v_fma_f64 v[28:29], v[28:29], s[6:7], v[126:127]
	v_fma_f64 v[20:21], v[20:21], 0.5, v[106:107]
	v_fma_f64 v[102:103], v[110:111], s[2:3], v[136:137]
	v_fma_f64 v[78:79], v[112:113], s[2:3], v[12:13]
	;; [unrolled: 3-line block ×3, first 2 shown]
	v_fma_f64 v[26:27], v[142:143], s[6:7], v[26:27]
	v_add_nc_u32_e32 v223, 0x400, v228
	v_add_nc_u32_e32 v224, 0x400, v198
	v_fma_f64 v[40:41], v[144:145], s[2:3], v[40:41]
	global_wb scope:SCOPE_SE
	s_barrier_signal -1
	v_fma_f64 v[38:39], v[38:39], s[6:7], v[116:117]
	s_barrier_wait -1
	v_add_f64_e32 v[52:53], v[44:45], v[56:57]
	v_add_f64_e64 v[44:45], v[44:45], -v[56:57]
	v_fma_f64 v[56:57], v[138:139], s[2:3], v[24:25]
	v_fma_f64 v[60:61], v[60:61], 0.5, v[156:157]
	v_fma_f64 v[8:9], v[8:9], 0.5, v[118:119]
	v_fma_f64 v[24:25], v[138:139], s[6:7], v[24:25]
	v_fma_f64 v[106:107], v[146:147], s[2:3], v[122:123]
	v_fma_f64 v[74:75], v[74:75], 0.5, v[158:159]
	v_fma_f64 v[108:109], v[152:153], s[2:3], v[160:161]
	v_fma_f64 v[104:105], v[14:15], s[2:3], v[94:95]
	;; [unrolled: 3-line block ×3, first 2 shown]
	v_add_f64_e32 v[116:117], v[82:83], v[62:63]
	v_add_f64_e32 v[118:119], v[0:1], v[70:71]
	v_add_f64_e64 v[62:63], v[82:83], -v[62:63]
	v_add_f64_e64 v[0:1], v[0:1], -v[70:71]
	v_add_f64_e32 v[70:71], v[84:85], v[58:59]
	v_add_f64_e32 v[82:83], v[2:3], v[54:55]
	v_add_f64_e32 v[150:151], v[18:19], v[92:93]
	v_add_f64_e64 v[18:19], v[18:19], -v[92:93]
	v_add_f64_e32 v[92:93], v[120:121], v[50:51]
	v_add_f64_e32 v[94:95], v[46:47], v[64:65]
	v_add_f64_e64 v[46:47], v[46:47], -v[64:65]
	v_add_f64_e32 v[64:65], v[80:81], v[68:69]
	v_add_f64_e64 v[58:59], v[84:85], -v[58:59]
	v_add_f64_e64 v[2:3], v[2:3], -v[54:55]
	v_add_f64_e32 v[84:85], v[4:5], v[36:37]
	v_add_f64_e64 v[4:5], v[4:5], -v[36:37]
	v_add_f64_e32 v[36:37], v[48:49], v[22:23]
	;; [unrolled: 2-line block ×3, first 2 shown]
	v_add_f64_e64 v[28:29], v[42:43], -v[28:29]
	v_add_f64_e64 v[42:43], v[80:81], -v[68:69]
	v_add_f64_e32 v[68:69], v[76:77], v[66:67]
	v_add_f64_e64 v[66:67], v[76:77], -v[66:67]
	v_add_f64_e32 v[76:77], v[72:73], v[96:97]
	;; [unrolled: 2-line block ×3, first 2 shown]
	v_add_f64_e32 v[80:81], v[10:11], v[102:103]
	v_add_f64_e64 v[72:73], v[72:73], -v[96:97]
	v_add_f64_e64 v[96:97], v[10:11], -v[102:103]
	;; [unrolled: 1-line block ×3, first 2 shown]
	v_add_f64_e32 v[102:103], v[78:79], v[34:35]
	v_add_f64_e32 v[148:149], v[12:13], v[40:41]
	;; [unrolled: 1-line block ×3, first 2 shown]
	v_add_f64_e64 v[34:35], v[78:79], -v[34:35]
	v_add_f64_e64 v[40:41], v[12:13], -v[40:41]
	;; [unrolled: 1-line block ×3, first 2 shown]
	v_add_f64_e32 v[78:79], v[56:57], v[60:61]
	v_add_f64_e32 v[38:39], v[140:141], v[8:9]
	v_add_f64_e64 v[56:57], v[56:57], -v[60:61]
	v_add_f64_e32 v[60:61], v[24:25], v[106:107]
	v_add_f64_e64 v[24:25], v[24:25], -v[106:107]
	v_add_f64_e64 v[8:9], v[140:141], -v[8:9]
	v_add_f64_e32 v[152:153], v[98:99], v[74:75]
	v_add_f64_e64 v[74:75], v[98:99], -v[74:75]
	v_add_f64_e32 v[98:99], v[26:27], v[108:109]
	;; [unrolled: 2-line block ×3, first 2 shown]
	v_add_f64_e32 v[158:159], v[14:15], v[112:113]
	v_add_f64_e64 v[156:157], v[104:105], -v[110:111]
	v_add_f64_e64 v[160:161], v[14:15], -v[112:113]
	global_inv scope:SCOPE_SE
	ds_store_2addr_b64 v227, v[100:101], v[116:117] offset1:60
	ds_store_2addr_b64 v227, v[118:119], v[30:31] offset0:120 offset1:180
	ds_store_2addr_b64 v222, v[62:63], v[0:1] offset0:112 offset1:172
	ds_store_2addr_b64 v198, v[114:115], v[70:71] offset1:60
	ds_store_2addr_b64 v198, v[82:83], v[86:87] offset0:120 offset1:180
	ds_store_2addr_b64 v224, v[58:59], v[2:3] offset0:112 offset1:172
	;; [unrolled: 3-line block ×5, first 2 shown]
	v_and_b32_e32 v22, 0xffff, v189
	global_wb scope:SCOPE_SE
	s_wait_dscnt 0x0
	s_barrier_signal -1
	s_barrier_wait -1
	global_inv scope:SCOPE_SE
	ds_load_b64 v[142:143], v199 offset:3840
	ds_load_b64 v[138:139], v199 offset:7680
	ds_load_b64 v[140:141], v213
	ds_load_b64 v[136:137], v214
	;; [unrolled: 1-line block ×3, first 2 shown]
	ds_load_b64 v[146:147], v199 offset:22272
	ds_load_2addr_b64 v[12:15], v199 offset1:96
	ds_load_2addr_b64 v[128:131], v202 offset0:32 offset1:128
	ds_load_2addr_b64 v[16:19], v200 offset0:64 offset1:160
	;; [unrolled: 1-line block ×7, first 2 shown]
	ds_load_2addr_stride64_b64 v[4:7], v179 offset0:13 offset1:16
	ds_load_2addr_b64 v[108:111], v203 offset0:96 offset1:192
	ds_load_2addr_b64 v[104:107], v207 offset0:32 offset1:128
	;; [unrolled: 1-line block ×3, first 2 shown]
	global_wb scope:SCOPE_SE
	s_wait_dscnt 0x0
	s_barrier_signal -1
	s_barrier_wait -1
	global_inv scope:SCOPE_SE
	ds_store_2addr_b64 v227, v[92:93], v[76:77] offset1:60
	ds_store_2addr_b64 v227, v[80:81], v[50:51] offset0:120 offset1:180
	ds_store_2addr_b64 v222, v[72:73], v[96:97] offset0:112 offset1:172
	ds_store_2addr_b64 v198, v[52:53], v[102:103] offset1:60
	ds_store_2addr_b64 v198, v[148:149], v[44:45] offset0:120 offset1:180
	ds_store_2addr_b64 v224, v[34:35], v[40:41] offset0:112 offset1:172
	;; [unrolled: 3-line block ×5, first 2 shown]
	v_mul_u32_u24_e32 v22, 0x2d83, v22
	v_add_nc_u32_e32 v42, 0x360, v169
	v_add_nc_u32_e32 v175, 0x3c0, v169
	;; [unrolled: 1-line block ×3, first 2 shown]
	v_and_b32_e32 v23, 0xffff, v168
	v_lshrrev_b32_e32 v178, 22, v22
	v_and_b32_e32 v25, 0xffff, v42
	v_add_nc_u32_e32 v176, 0x4e0, v169
	v_and_b32_e32 v46, 0xffff, v56
	v_mul_u32_u24_e32 v24, 0x2d83, v23
	v_mul_lo_u16 v44, 0x168, v178
	v_mul_u32_u24_e32 v45, 0x2d83, v25
	v_and_b32_e32 v52, 0xffff, v176
	v_mul_u32_u24_e32 v50, 0x2d83, v46
	v_lshrrev_b32_e32 v43, 22, v24
	v_sub_nc_u16 v44, v189, v44
	v_lshrrev_b32_e32 v45, 22, v45
	v_lshlrev_b64_e32 v[20:21], 4, v[173:174]
	v_lshrrev_b32_e32 v185, 22, v50
	v_mul_lo_u16 v43, 0x168, v43
	v_and_b32_e32 v181, 0xffff, v44
	v_mul_lo_u16 v44, 0x168, v45
	v_and_b32_e32 v45, 0xffff, v175
	v_mul_u32_u24_e32 v59, 0x2d83, v52
	v_mul_lo_u16 v60, 0x168, v185
	v_sub_nc_u16 v43, v168, v43
	v_sub_nc_u16 v48, v42, v44
	v_mul_u32_u24_e32 v49, 0x2d83, v45
	v_lshrrev_b32_e32 v59, 22, v59
	v_add_co_u32 v40, s0, s4, v20
	s_delay_alu instid0(VALU_DEP_4) | instskip(NEXT) | instid1(VALU_DEP_4)
	v_and_b32_e32 v183, 0xffff, v48
	v_lshrrev_b32_e32 v48, 22, v49
	v_and_b32_e32 v49, 0xffff, v166
	v_sub_nc_u16 v56, v56, v60
	global_wb scope:SCOPE_SE
	s_wait_dscnt 0x0
	s_barrier_signal -1
	v_mul_lo_u16 v57, 0x168, v48
	v_mul_u32_u24_e32 v58, 0x2d83, v49
	s_barrier_wait -1
	global_inv scope:SCOPE_SE
	s_wait_alu 0xf1ff
	v_add_co_ci_u32_e64 v41, s0, s5, v21, s0
	v_lshrrev_b32_e32 v58, 22, v58
	v_sub_nc_u16 v57, v175, v57
	s_clause 0x1
	global_load_b128 v[156:159], v[134:135], off offset:5600
	global_load_b128 v[20:23], v[134:135], off offset:5984
	v_and_b32_e32 v182, 0xffff, v43
	v_add_nc_u32_e32 v177, 0x540, v169
	v_mul_lo_u16 v58, 0x168, v58
	v_mul_lo_u16 v59, 0x168, v59
	v_and_b32_e32 v187, 0xffff, v57
	v_and_b32_e32 v188, 0xffff, v56
	s_clause 0x3
	global_load_b128 v[36:39], v[134:135], off offset:7136
	global_load_b128 v[24:27], v[134:135], off offset:7520
	;; [unrolled: 1-line block ×4, first 2 shown]
	v_lshlrev_b32_e32 v43, 4, v181
	v_lshlrev_b32_e32 v51, 4, v182
	v_and_b32_e32 v56, 0xffff, v177
	v_sub_nc_u16 v57, v166, v58
	v_sub_nc_u16 v58, v176, v59
	v_lshlrev_b32_e32 v59, 4, v187
	v_lshlrev_b32_e32 v53, 4, v183
	;; [unrolled: 1-line block ×3, first 2 shown]
	s_clause 0x3
	global_load_b128 v[44:47], v[40:41], off offset:5600
	global_load_b128 v[40:43], v43, s[4:5] offset:5600
	global_load_b128 v[48:51], v51, s[4:5] offset:5600
	;; [unrolled: 1-line block ×3, first 2 shown]
	v_mul_u32_u24_e32 v64, 0x2d83, v56
	v_and_b32_e32 v190, 0xffff, v57
	v_and_b32_e32 v184, 0xffff, v58
	s_clause 0x1
	global_load_b128 v[56:59], v59, s[4:5] offset:5600
	global_load_b128 v[60:63], v60, s[4:5] offset:5600
	v_cmp_lt_u32_e64 s0, 0x47, v169
	v_lshrrev_b32_e32 v64, 22, v64
	v_lshlrev_b32_e32 v65, 4, v190
	v_lshlrev_b32_e32 v68, 4, v184
	v_mul_u32_u24_e32 v185, 0x1680, v185
	v_mul_u32_u24_e32 v178, 0x1680, v178
	v_mul_lo_u16 v72, 0x168, v64
	s_clause 0x1
	global_load_b128 v[64:67], v65, s[4:5] offset:5600
	global_load_b128 v[68:71], v68, s[4:5] offset:5600
	v_lshlrev_b32_e32 v181, 3, v181
	v_lshl_add_u32 v182, v182, 3, 0
	v_sub_nc_u16 v72, v177, v72
	s_delay_alu instid0(VALU_DEP_1) | instskip(NEXT) | instid1(VALU_DEP_1)
	v_and_b32_e32 v186, 0xffff, v72
	v_lshlrev_b32_e32 v72, 4, v186
	global_load_b128 v[72:75], v72, s[4:5] offset:5600
	ds_load_2addr_b64 v[84:87], v202 offset0:32 offset1:128
	ds_load_2addr_b64 v[76:79], v205 offset0:96 offset1:192
	;; [unrolled: 1-line block ×7, first 2 shown]
	ds_load_b64 v[148:149], v199 offset:22272
	ds_load_b64 v[150:151], v206
	ds_load_b64 v[152:153], v199 offset:3840
	ds_load_b64 v[154:155], v199 offset:7680
	s_wait_loadcnt_dscnt 0xe0a
	v_mul_f64_e32 v[162:163], v[84:85], v[158:159]
	v_mul_f64_e32 v[158:159], v[128:129], v[158:159]
	s_wait_loadcnt_dscnt 0xd08
	v_mul_f64_e32 v[197:198], v[88:89], v[22:23]
	s_wait_loadcnt 0xc
	v_mul_f64_e32 v[191:192], v[86:87], v[38:39]
	s_wait_loadcnt 0xb
	v_mul_f64_e32 v[211:212], v[90:91], v[26:27]
	s_wait_loadcnt 0xa
	v_mul_f64_e32 v[193:194], v[76:77], v[34:35]
	s_wait_loadcnt_dscnt 0x907
	v_mul_f64_e32 v[216:217], v[92:93], v[30:31]
	v_mul_f64_e32 v[160:161], v[130:131], v[38:39]
	s_wait_loadcnt 0x8
	v_mul_f64_e32 v[195:196], v[78:79], v[46:47]
	s_wait_loadcnt 0x7
	v_mul_f64_e32 v[218:219], v[94:95], v[42:43]
	s_wait_loadcnt_dscnt 0x606
	v_mul_f64_e32 v[220:221], v[80:81], v[50:51]
	s_wait_loadcnt 0x5
	v_mul_f64_e32 v[222:223], v[82:83], v[54:55]
	s_wait_loadcnt_dscnt 0x405
	v_mul_f64_e32 v[224:225], v[96:97], v[58:59]
	s_wait_loadcnt 0x3
	v_mul_f64_e32 v[226:227], v[98:99], v[62:63]
	s_wait_loadcnt_dscnt 0x204
	v_mul_f64_e32 v[228:229], v[100:101], v[66:67]
	s_wait_loadcnt 0x1
	v_mul_f64_e32 v[230:231], v[102:103], v[70:71]
	v_fma_f64 v[128:129], v[128:129], v[156:157], -v[162:163]
	v_fma_f64 v[38:39], v[84:85], v[156:157], v[158:159]
	v_mul_f64_e32 v[156:157], v[124:125], v[34:35]
	v_mul_f64_e32 v[158:159], v[126:127], v[46:47]
	;; [unrolled: 1-line block ×3, first 2 shown]
	v_fma_f64 v[34:35], v[130:131], v[36:37], -v[191:192]
	v_mul_f64_e32 v[130:131], v[120:121], v[22:23]
	v_fma_f64 v[22:23], v[124:125], v[32:33], -v[193:194]
	v_mul_f64_e32 v[124:125], v[116:117], v[30:31]
	;; [unrolled: 2-line block ×5, first 2 shown]
	v_fma_f64 v[36:37], v[86:87], v[36:37], v[160:161]
	v_fma_f64 v[26:27], v[126:127], v[44:45], -v[195:196]
	v_fma_f64 v[42:43], v[118:119], v[40:41], -v[218:219]
	v_mul_f64_e32 v[118:119], v[110:111], v[62:63]
	v_fma_f64 v[62:63], v[112:113], v[48:49], -v[220:221]
	v_mul_f64_e32 v[112:113], v[106:107], v[70:71]
	s_wait_loadcnt_dscnt 0x3
	v_mul_f64_e32 v[126:127], v[148:149], v[74:75]
	v_fma_f64 v[70:71], v[108:109], v[56:57], -v[224:225]
	v_mul_f64_e32 v[108:109], v[108:109], v[58:59]
	v_fma_f64 v[54:55], v[110:111], v[60:61], -v[226:227]
	;; [unrolled: 2-line block ×3, first 2 shown]
	v_mul_f64_e32 v[114:115], v[146:147], v[74:75]
	s_wait_alu 0xf1ff
	v_cndmask_b32_e64 v191, 0, 0x1680, s0
	v_cmp_gt_u32_e64 s0, 48, v169
	v_fma_f64 v[74:75], v[104:105], v[64:65], -v[228:229]
	v_subrev_nc_u32_e32 v104, 48, v169
	v_lshlrev_b32_e32 v105, 3, v173
	v_fma_f64 v[58:59], v[106:107], v[68:69], -v[230:231]
	v_lshl_add_u32 v196, v190, 3, 0
	v_lshlrev_b64_e32 v[66:67], 4, v[171:172]
	s_wait_alu 0xf1ff
	v_cndmask_b32_e64 v173, v104, v189, s0
	v_add3_u32 v195, 0, v191, v105
	ds_load_2addr_b64 v[104:107], v199 offset1:96
	ds_load_2addr_b64 v[189:192], v200 offset0:64 offset1:160
	v_add_nc_u32_e32 v193, 0x1400, v215
	v_fma_f64 v[32:33], v[76:77], v[32:33], v[156:157]
	v_fma_f64 v[44:45], v[78:79], v[44:45], v[158:159]
	;; [unrolled: 1-line block ×3, first 2 shown]
	v_add_f64_e64 v[34:35], v[14:15], -v[34:35]
	v_fma_f64 v[76:77], v[88:89], v[20:21], v[130:131]
	v_lshlrev_b64_e32 v[171:172], 4, v[173:174]
	v_fma_f64 v[88:89], v[92:93], v[28:29], v[124:125]
	v_add_f64_e64 v[46:47], v[142:143], -v[46:47]
	v_fma_f64 v[40:41], v[94:95], v[40:41], v[122:123]
	ds_load_b64 v[94:95], v213
	v_fma_f64 v[48:49], v[80:81], v[48:49], v[120:121]
	v_add_f64_e64 v[80:81], v[12:13], -v[128:129]
	v_fma_f64 v[52:53], v[82:83], v[52:53], v[116:117]
	v_add_f64_e64 v[82:83], v[16:17], -v[22:23]
	ds_load_2addr_b64 v[20:23], v170 offset0:64 offset1:160
	v_add_f64_e64 v[90:91], v[18:19], -v[26:27]
	v_fma_f64 v[60:61], v[98:99], v[60:61], v[118:119]
	ds_load_2addr_stride64_b64 v[24:27], v179 offset0:13 offset1:16
	v_fma_f64 v[68:69], v[102:103], v[68:69], v[112:113]
	v_fma_f64 v[86:87], v[146:147], v[72:73], -v[126:127]
	v_add_f64_e64 v[92:93], v[144:145], -v[30:31]
	v_fma_f64 v[56:57], v[96:97], v[56:57], v[108:109]
	ds_load_b64 v[96:97], v214
	v_fma_f64 v[64:65], v[100:101], v[64:65], v[110:111]
	ds_load_2addr_b64 v[28:31], v180 offset0:96 offset1:192
	v_fma_f64 v[72:73], v[148:149], v[72:73], v[114:115]
	s_wait_dscnt 0x6
	v_add_f64_e64 v[98:99], v[104:105], -v[38:39]
	v_add_f64_e64 v[100:101], v[106:107], -v[36:37]
	;; [unrolled: 1-line block ×10, first 2 shown]
	v_lshlrev_b32_e32 v112, 3, v188
	global_wb scope:SCOPE_SE
	s_wait_dscnt 0x0
	v_add_f64_e64 v[102:103], v[189:190], -v[32:33]
	v_add_f64_e64 v[108:109], v[191:192], -v[44:45]
	;; [unrolled: 1-line block ×3, first 2 shown]
	v_fma_f64 v[14:15], v[14:15], 2.0, -v[34:35]
	v_add_f64_e64 v[76:77], v[150:151], -v[76:77]
	s_barrier_signal -1
	v_add_f64_e64 v[88:89], v[20:21], -v[88:89]
	s_barrier_wait -1
	v_add_f64_e64 v[110:111], v[22:23], -v[40:41]
	global_inv scope:SCOPE_SE
	v_add_f64_e64 v[48:49], v[94:95], -v[48:49]
	v_fma_f64 v[12:13], v[12:13], 2.0, -v[80:81]
	v_add_f64_e64 v[52:53], v[24:25], -v[52:53]
	v_fma_f64 v[16:17], v[16:17], 2.0, -v[82:83]
	ds_store_2addr_b64 v210, v[34:35], v[82:83] offset0:72 offset1:168
	v_fma_f64 v[18:19], v[18:19], 2.0, -v[90:91]
	v_add_f64_e64 v[60:61], v[26:27], -v[60:61]
	v_fma_f64 v[36:37], v[142:143], 2.0, -v[46:47]
	v_add_f64_e64 v[68:69], v[28:29], -v[68:69]
	v_add_f64_e64 v[86:87], v[2:3], -v[86:87]
	v_fma_f64 v[32:33], v[144:145], 2.0, -v[92:93]
	v_add_f64_e64 v[56:57], v[154:155], -v[56:57]
	v_add_nc_u32_e32 v194, 0x1c00, v215
	v_add_f64_e64 v[64:65], v[96:97], -v[64:65]
	v_lshl_add_u32 v156, v183, 3, 0
	v_add_f64_e64 v[72:73], v[30:31], -v[72:73]
	v_fma_f64 v[82:83], v[104:105], 2.0, -v[98:99]
	v_fma_f64 v[104:105], v[106:107], 2.0, -v[100:101]
	v_fma_f64 v[38:39], v[140:141], 2.0, -v[62:63]
	v_add3_u32 v141, 0, v185, v112
	v_fma_f64 v[8:9], v[8:9], 2.0, -v[84:85]
	v_fma_f64 v[10:11], v[10:11], 2.0, -v[42:43]
	;; [unrolled: 1-line block ×7, first 2 shown]
	v_lshl_add_u32 v157, v187, 3, 0
	v_fma_f64 v[106:107], v[189:190], 2.0, -v[102:103]
	v_fma_f64 v[112:113], v[191:192], 2.0, -v[108:109]
	;; [unrolled: 1-line block ×3, first 2 shown]
	v_lshl_add_u32 v142, v184, 3, 0
	v_fma_f64 v[114:115], v[150:151], 2.0, -v[76:77]
	v_lshl_add_u32 v143, v186, 3, 0
	v_fma_f64 v[118:119], v[20:21], 2.0, -v[88:89]
	v_add3_u32 v140, 0, v178, v181
	v_fma_f64 v[120:121], v[22:23], 2.0, -v[110:111]
	v_add_co_u32 v66, s0, s4, v66
	v_fma_f64 v[94:95], v[94:95], 2.0, -v[48:49]
	v_fma_f64 v[122:123], v[24:25], 2.0, -v[52:53]
	s_wait_alu 0xf1ff
	v_add_co_ci_u32_e64 v67, s0, s5, v67, s0
	v_fma_f64 v[124:125], v[26:27], 2.0, -v[60:61]
	v_fma_f64 v[126:127], v[28:29], 2.0, -v[68:69]
	;; [unrolled: 1-line block ×3, first 2 shown]
	ds_store_2addr_b64 v199, v[12:13], v[14:15] offset1:96
	ds_store_2addr_b64 v200, v[16:17], v[80:81] offset0:64 offset1:232
	ds_store_b64 v195, v[18:19]
	ds_store_b64 v195, v[90:91] offset:2880
	ds_store_2addr_b64 v193, v[32:33], v[36:37] offset0:104 offset1:200
	ds_store_2addr_b64 v194, v[8:9], v[92:93] offset0:40 offset1:208
	;; [unrolled: 1-line block ×3, first 2 shown]
	ds_store_b64 v140, v[10:11]
	ds_store_b64 v140, v[42:43] offset:2880
	ds_store_b64 v182, v[38:39] offset:11520
	;; [unrolled: 1-line block ×7, first 2 shown]
	ds_store_b64 v141, v[6:7]
	ds_store_b64 v141, v[54:55] offset:2880
	ds_store_b64 v196, v[44:45] offset:17280
	;; [unrolled: 1-line block ×7, first 2 shown]
	v_fma_f64 v[130:131], v[154:155], 2.0, -v[56:57]
	v_fma_f64 v[96:97], v[96:97], 2.0, -v[64:65]
	;; [unrolled: 1-line block ×3, first 2 shown]
	global_wb scope:SCOPE_SE
	s_wait_dscnt 0x0
	s_barrier_signal -1
	s_barrier_wait -1
	global_inv scope:SCOPE_SE
	ds_load_2addr_b64 v[0:3], v199 offset1:96
	ds_load_2addr_b64 v[4:7], v202 offset0:32 offset1:128
	ds_load_2addr_b64 v[8:11], v200 offset0:64 offset1:160
	;; [unrolled: 1-line block ×4, first 2 shown]
	ds_load_b64 v[144:145], v199 offset:3840
	ds_load_b64 v[146:147], v199 offset:7680
	ds_load_b64 v[148:149], v213
	ds_load_b64 v[150:151], v214
	;; [unrolled: 1-line block ×3, first 2 shown]
	ds_load_b64 v[154:155], v199 offset:22272
	ds_load_2addr_b64 v[20:23], v170 offset0:64 offset1:160
	ds_load_2addr_b64 v[24:27], v204 offset0:96 offset1:192
	;; [unrolled: 1-line block ×3, first 2 shown]
	ds_load_2addr_stride64_b64 v[32:35], v179 offset0:13 offset1:16
	ds_load_2addr_b64 v[36:39], v203 offset0:96 offset1:192
	ds_load_2addr_b64 v[40:43], v207 offset0:32 offset1:128
	;; [unrolled: 1-line block ×3, first 2 shown]
	global_wb scope:SCOPE_SE
	s_wait_dscnt 0x0
	s_barrier_signal -1
	s_barrier_wait -1
	global_inv scope:SCOPE_SE
	ds_store_2addr_b64 v199, v[82:83], v[104:105] offset1:96
	ds_store_2addr_b64 v210, v[100:101], v[102:103] offset0:72 offset1:168
	ds_store_2addr_b64 v200, v[106:107], v[98:99] offset0:64 offset1:232
	ds_store_b64 v195, v[112:113]
	ds_store_b64 v195, v[108:109] offset:2880
	ds_store_2addr_b64 v193, v[114:115], v[116:117] offset0:104 offset1:200
	ds_store_2addr_b64 v194, v[118:119], v[76:77] offset0:40 offset1:208
	;; [unrolled: 1-line block ×3, first 2 shown]
	ds_store_b64 v140, v[120:121]
	ds_store_b64 v140, v[110:111] offset:2880
	ds_store_b64 v182, v[94:95] offset:11520
	;; [unrolled: 1-line block ×7, first 2 shown]
	ds_store_b64 v141, v[124:125]
	ds_store_b64 v141, v[60:61] offset:2880
	ds_store_b64 v196, v[96:97] offset:17280
	ds_store_b64 v196, v[64:65] offset:20160
	ds_store_b64 v142, v[126:127] offset:17280
	ds_store_b64 v142, v[68:69] offset:20160
	ds_store_b64 v143, v[128:129] offset:17280
	ds_store_b64 v143, v[72:73] offset:20160
	global_wb scope:SCOPE_SE
	s_wait_dscnt 0x0
	s_barrier_signal -1
	s_barrier_wait -1
	global_inv scope:SCOPE_SE
	s_clause 0x3
	global_load_b128 v[48:51], v[134:135], off offset:11360
	global_load_b128 v[52:55], v[134:135], off offset:12896
	;; [unrolled: 1-line block ×4, first 2 shown]
	v_add_co_u32 v64, s0, s4, v171
	s_wait_alu 0xf1ff
	v_add_co_ci_u32_e64 v65, s0, s5, v172, s0
	s_clause 0xa
	global_load_b128 v[68:71], v[66:67], off offset:11360
	global_load_b128 v[72:75], v[134:135], off offset:19040
	;; [unrolled: 1-line block ×11, first 2 shown]
	ds_load_2addr_b64 v[112:115], v202 offset0:32 offset1:128
	ds_load_2addr_b64 v[116:119], v205 offset0:96 offset1:192
	;; [unrolled: 1-line block ×7, first 2 shown]
	ds_load_b64 v[181:182], v199 offset:22272
	ds_load_b64 v[187:188], v206
	ds_load_b64 v[189:190], v199 offset:7680
	v_cmp_lt_u32_e64 s0, 47, v169
	s_wait_alu 0xf1ff
	s_delay_alu instid0(VALU_DEP_1)
	v_cndmask_b32_e64 v169, 0, 0x2d00, s0
	s_wait_loadcnt_dscnt 0xa07
	v_mul_f64_e32 v[162:163], v[120:121], v[70:71]
	s_wait_loadcnt 0x9
	v_mul_f64_e32 v[171:172], v[122:123], v[74:75]
	v_mul_f64_e32 v[64:65], v[112:113], v[50:51]
	;; [unrolled: 1-line block ×5, first 2 shown]
	s_wait_loadcnt_dscnt 0x806
	v_mul_f64_e32 v[183:184], v[124:125], v[78:79]
	s_wait_loadcnt 0x7
	v_mul_f64_e32 v[185:186], v[126:127], v[82:83]
	s_wait_loadcnt_dscnt 0x605
	v_mul_f64_e32 v[191:192], v[128:129], v[86:87]
	s_wait_loadcnt 0x5
	v_mul_f64_e32 v[193:194], v[130:131], v[90:91]
	;; [unrolled: 4-line block ×4, first 2 shown]
	s_wait_loadcnt_dscnt 0x2
	v_mul_f64_e32 v[218:219], v[181:182], v[110:111]
	v_mul_f64_e32 v[50:51], v[4:5], v[50:51]
	;; [unrolled: 1-line block ×13, first 2 shown]
	v_fma_f64 v[16:17], v[16:17], v[68:69], -v[162:163]
	v_fma_f64 v[162:163], v[18:19], v[72:73], -v[171:172]
	;; [unrolled: 1-line block ×6, first 2 shown]
	v_mul_f64_e32 v[18:19], v[28:29], v[86:87]
	v_mul_f64_e32 v[86:87], v[36:37], v[94:95]
	v_fma_f64 v[94:95], v[24:25], v[76:77], -v[183:184]
	v_fma_f64 v[171:172], v[26:27], v[80:81], -v[185:186]
	;; [unrolled: 1-line block ×6, first 2 shown]
	v_mul_f64_e32 v[24:25], v[40:41], v[102:103]
	v_fma_f64 v[40:41], v[40:41], v[100:101], -v[210:211]
	v_fma_f64 v[42:43], v[42:43], v[104:105], -v[216:217]
	;; [unrolled: 1-line block ×3, first 2 shown]
	v_fma_f64 v[48:49], v[112:113], v[48:49], v[50:51]
	v_fma_f64 v[50:51], v[114:115], v[52:53], v[54:55]
	;; [unrolled: 1-line block ×12, first 2 shown]
	ds_load_b64 v[102:103], v199 offset:3840
	ds_load_2addr_b64 v[4:7], v199 offset1:96
	ds_load_b64 v[191:192], v213
	ds_load_b64 v[193:194], v214
	ds_load_2addr_b64 v[12:15], v200 offset0:64 offset1:160
	ds_load_2addr_b64 v[28:31], v180 offset0:96 offset1:192
	v_lshlrev_b32_e32 v114, 3, v173
	v_add_nc_u32_e32 v142, 0x3000, v215
	v_add_nc_u32_e32 v143, 0x4c00, v215
	v_add_f64_e64 v[88:89], v[152:153], -v[16:17]
	v_add_f64_e64 v[90:91], v[144:145], -v[162:163]
	;; [unrolled: 1-line block ×4, first 2 shown]
	v_fma_f64 v[72:73], v[128:129], v[84:85], v[18:19]
	v_fma_f64 v[74:75], v[136:137], v[92:93], v[86:87]
	v_add_f64_e64 v[84:85], v[8:9], -v[158:159]
	v_add_f64_e64 v[86:87], v[10:11], -v[160:161]
	;; [unrolled: 1-line block ×8, first 2 shown]
	v_fma_f64 v[80:81], v[140:141], v[100:101], v[24:25]
	v_add_f64_e64 v[42:43], v[44:45], -v[42:43]
	v_add_f64_e64 v[40:41], v[150:151], -v[40:41]
	;; [unrolled: 1-line block ×3, first 2 shown]
	ds_load_2addr_b64 v[16:19], v170 offset0:64 offset1:160
	ds_load_2addr_stride64_b64 v[24:27], v179 offset0:13 offset1:16
	s_wait_dscnt 0x6
	v_add_f64_e64 v[48:49], v[4:5], -v[48:49]
	v_add_f64_e64 v[50:51], v[6:7], -v[50:51]
	s_wait_dscnt 0x3
	v_add_f64_e64 v[52:53], v[12:13], -v[52:53]
	v_add_f64_e64 v[54:55], v[14:15], -v[54:55]
	;; [unrolled: 3-line block ×3, first 2 shown]
	v_add_f64_e64 v[106:107], v[187:188], -v[68:69]
	v_add_f64_e64 v[108:109], v[102:103], -v[70:71]
	v_add_nc_u32_e32 v140, 0x2c00, v215
	v_add_nc_u32_e32 v141, 0x4800, v215
	;; [unrolled: 1-line block ×3, first 2 shown]
	global_wb scope:SCOPE_SE
	s_wait_dscnt 0x0
	s_barrier_signal -1
	s_barrier_wait -1
	global_inv scope:SCOPE_SE
	ds_store_2addr_b64 v209, v[64:65], v[82:83] offset0:80 offset1:176
	ds_store_2addr_b64 v167, v[84:85], v[86:87] offset0:144 offset1:240
	v_add_f64_e64 v[56:57], v[16:17], -v[56:57]
	v_add_f64_e64 v[58:59], v[18:19], -v[58:59]
	;; [unrolled: 1-line block ×4, first 2 shown]
	v_fma_f64 v[0:1], v[0:1], 2.0, -v[64:65]
	v_fma_f64 v[2:3], v[2:3], 2.0, -v[82:83]
	;; [unrolled: 1-line block ×8, first 2 shown]
	v_add_f64_e64 v[110:111], v[191:192], -v[72:73]
	v_fma_f64 v[32:33], v[32:33], 2.0, -v[96:97]
	v_fma_f64 v[72:73], v[148:149], 2.0, -v[98:99]
	v_add_f64_e64 v[112:113], v[189:190], -v[74:75]
	v_fma_f64 v[34:35], v[34:35], 2.0, -v[38:39]
	v_fma_f64 v[74:75], v[146:147], 2.0, -v[36:37]
	;; [unrolled: 3-line block ×3, first 2 shown]
	v_fma_f64 v[46:47], v[46:47], 2.0, -v[100:101]
	v_add_nc_u32_e32 v152, 0x4000, v215
	v_add_nc_u32_e32 v144, 0x5000, v215
	v_add3_u32 v145, 0, v169, v114
	v_fma_f64 v[82:83], v[4:5], 2.0, -v[48:49]
	v_fma_f64 v[84:85], v[6:7], 2.0, -v[50:51]
	;; [unrolled: 1-line block ×6, first 2 shown]
	ds_store_2addr_b64 v199, v[0:1], v[2:3] offset1:96
	ds_store_2addr_b64 v200, v[8:9], v[10:11] offset0:64 offset1:160
	ds_store_b64 v206, v[68:69]
	ds_store_b64 v206, v[88:89] offset:5760
	ds_store_b64 v199, v[70:71] offset:3840
	;; [unrolled: 1-line block ×5, first 2 shown]
	ds_store_b64 v145, v[22:23]
	ds_store_b64 v145, v[94:95] offset:5760
	ds_store_2addr_b64 v140, v[72:73], v[32:33] offset0:80 offset1:176
	ds_store_2addr_b64 v141, v[96:97], v[36:37] offset1:96
	ds_store_2addr_b64 v142, v[74:75], v[34:35] offset0:144 offset1:240
	ds_store_2addr_b64 v143, v[38:39], v[40:41] offset0:64 offset1:160
	ds_store_2addr_b64 v154, v[76:77], v[44:45] offset0:80 offset1:176
	ds_store_2addr_b64 v152, v[46:47], v[98:99] offset0:16 offset1:160
	ds_store_2addr_b64 v144, v[42:43], v[100:101] offset0:128 offset1:224
	v_fma_f64 v[116:117], v[16:17], 2.0, -v[56:57]
	v_fma_f64 v[118:119], v[18:19], 2.0, -v[58:59]
	;; [unrolled: 1-line block ×4, first 2 shown]
	global_wb scope:SCOPE_SE
	s_wait_dscnt 0x0
	s_barrier_signal -1
	s_barrier_wait -1
	global_inv scope:SCOPE_SE
	ds_load_2addr_b64 v[0:3], v199 offset1:96
	ds_load_2addr_b64 v[28:31], v202 offset0:32 offset1:128
	ds_load_2addr_b64 v[4:7], v200 offset0:64 offset1:160
	;; [unrolled: 1-line block ×6, first 2 shown]
	ds_load_b64 v[70:71], v199 offset:3840
	ds_load_b64 v[74:75], v199 offset:7680
	ds_load_b64 v[68:69], v213
	ds_load_b64 v[64:65], v214
	;; [unrolled: 1-line block ×3, first 2 shown]
	ds_load_b64 v[76:77], v199 offset:22272
	ds_load_2addr_b64 v[24:27], v208 offset0:32 offset1:128
	ds_load_2addr_stride64_b64 v[8:11], v179 offset0:13 offset1:16
	ds_load_2addr_b64 v[44:47], v203 offset0:96 offset1:192
	ds_load_2addr_b64 v[36:39], v207 offset0:32 offset1:128
	;; [unrolled: 1-line block ×3, first 2 shown]
	v_fma_f64 v[128:129], v[187:188], 2.0, -v[106:107]
	v_fma_f64 v[102:103], v[102:103], 2.0, -v[108:109]
	;; [unrolled: 1-line block ×5, first 2 shown]
	global_wb scope:SCOPE_SE
	s_wait_dscnt 0x0
	s_barrier_signal -1
	s_barrier_wait -1
	global_inv scope:SCOPE_SE
	ds_store_2addr_b64 v209, v[48:49], v[50:51] offset0:80 offset1:176
	ds_store_2addr_b64 v167, v[52:53], v[54:55] offset0:144 offset1:240
	ds_store_2addr_b64 v199, v[82:83], v[84:85] offset1:96
	ds_store_2addr_b64 v200, v[86:87], v[114:115] offset0:64 offset1:160
	ds_store_b64 v206, v[128:129]
	ds_store_b64 v206, v[106:107] offset:5760
	ds_store_b64 v199, v[102:103] offset:3840
	;; [unrolled: 1-line block ×5, first 2 shown]
	ds_store_b64 v145, v[118:119]
	ds_store_b64 v145, v[58:59] offset:5760
	ds_store_2addr_b64 v140, v[130:131], v[120:121] offset0:80 offset1:176
	ds_store_2addr_b64 v141, v[60:61], v[112:113] offset1:96
	ds_store_2addr_b64 v142, v[136:137], v[122:123] offset0:144 offset1:240
	ds_store_2addr_b64 v143, v[62:63], v[80:81] offset0:64 offset1:160
	;; [unrolled: 1-line block ×5, first 2 shown]
	global_wb scope:SCOPE_SE
	s_wait_dscnt 0x0
	s_barrier_signal -1
	s_barrier_wait -1
	global_inv scope:SCOPE_SE
	s_and_saveexec_b32 s0, vcc_lo
	s_cbranch_execz .LBB0_15
; %bb.14:
	v_mov_b32_e32 v169, v174
	v_mov_b32_e32 v167, v174
	s_clause 0x7
	global_load_b128 v[48:51], v[134:135], off offset:44384
	global_load_b128 v[52:55], v[134:135], off offset:42848
	;; [unrolled: 1-line block ×8, first 2 shown]
	v_lshlrev_b64_e32 v[110:111], 4, v[168:169]
	s_clause 0x3
	global_load_b128 v[94:97], v[134:135], off offset:24416
	global_load_b128 v[98:101], v[134:135], off offset:22880
	;; [unrolled: 1-line block ×4, first 2 shown]
	v_lshlrev_b64_e32 v[112:113], 4, v[166:167]
	v_lshrrev_b32_e32 v175, 5, v175
	v_lshrrev_b32_e32 v176, 5, v176
	;; [unrolled: 1-line block ×3, first 2 shown]
	v_add_co_u32 v114, vcc_lo, s4, v110
	s_wait_alu 0xfffd
	v_add_co_ci_u32_e32 v115, vcc_lo, s5, v111, vcc_lo
	v_add_co_u32 v118, vcc_lo, s4, v112
	s_wait_alu 0xfffd
	v_add_co_ci_u32_e32 v119, vcc_lo, s5, v113, vcc_lo
	s_clause 0x2
	global_load_b128 v[110:113], v[66:67], off offset:22880
	global_load_b128 v[114:117], v[114:115], off offset:22880
	;; [unrolled: 1-line block ×3, first 2 shown]
	ds_load_b64 v[66:67], v199 offset:22272
	ds_load_2addr_b64 v[122:125], v207 offset0:32 offset1:128
	ds_load_2addr_b64 v[126:129], v203 offset0:96 offset1:192
	;; [unrolled: 1-line block ×6, first 2 shown]
	ds_load_2addr_stride64_b64 v[150:153], v179 offset0:13 offset1:16
	ds_load_2addr_b64 v[154:157], v208 offset0:32 offset1:128
	ds_load_b64 v[130:131], v214
	ds_load_b64 v[162:163], v213
	ds_load_2addr_b64 v[158:161], v170 offset0:64 offset1:160
	ds_load_2addr_b64 v[166:169], v201 offset0:32 offset1:128
	ds_load_b64 v[170:171], v206
	ds_load_b64 v[178:179], v199 offset:7680
	ds_load_b64 v[219:220], v199 offset:3840
	v_mul_hi_u32 v175, 0x5b05b06, v175
	v_mul_hi_u32 v176, 0x5b05b06, v176
	s_wait_loadcnt_dscnt 0xa0c
	v_mul_f64_e32 v[190:191], v[78:79], v[136:137]
	v_mul_f64_e32 v[172:173], v[48:49], v[66:67]
	;; [unrolled: 1-line block ×8, first 2 shown]
	s_wait_loadcnt 0x9
	v_mul_f64_e32 v[192:193], v[82:83], v[134:135]
	s_wait_loadcnt_dscnt 0x80b
	v_mul_f64_e32 v[194:195], v[86:87], v[140:141]
	s_wait_loadcnt 0x7
	v_mul_f64_e32 v[196:197], v[90:91], v[138:139]
	s_wait_loadcnt_dscnt 0x509
	v_mul_f64_e32 v[203:204], v[98:99], v[146:147]
	v_mul_f64_e32 v[146:147], v[100:101], v[146:147]
	;; [unrolled: 1-line block ×9, first 2 shown]
	s_wait_loadcnt_dscnt 0x407
	v_mul_f64_e32 v[207:208], v[102:103], v[156:157]
	s_wait_loadcnt_dscnt 0x203
	v_mul_f64_e32 v[211:212], v[110:111], v[166:167]
	v_mul_f64_e32 v[166:167], v[112:113], v[166:167]
	;; [unrolled: 1-line block ×5, first 2 shown]
	s_wait_loadcnt 0x1
	v_mul_f64_e32 v[213:214], v[114:115], v[154:155]
	v_mul_f64_e32 v[154:155], v[116:117], v[154:155]
	s_wait_loadcnt 0x0
	v_mul_f64_e32 v[215:216], v[118:119], v[122:123]
	v_mul_f64_e32 v[217:218], v[120:121], v[122:123]
	ds_load_2addr_b64 v[122:125], v200 offset0:64 offset1:160
	ds_load_2addr_b64 v[126:129], v199 offset1:96
	v_fma_f64 v[50:51], v[76:77], v[50:51], v[172:173]
	v_fma_f64 v[48:49], v[76:77], v[48:49], -v[66:67]
	v_fma_f64 v[54:55], v[38:39], v[54:55], v[180:181]
	v_fma_f64 v[38:39], v[38:39], v[52:53], -v[182:183]
	;; [unrolled: 2-line block ×3, first 2 shown]
	v_fma_f64 v[56:57], v[44:45], v[62:63], v[188:189]
	v_fma_f64 v[58:59], v[42:43], v[80:81], v[190:191]
	;; [unrolled: 1-line block ×6, first 2 shown]
	v_fma_f64 v[88:89], v[28:29], v[98:99], -v[146:147]
	v_fma_f64 v[80:81], v[30:31], v[96:97], v[201:202]
	v_fma_f64 v[92:93], v[30:31], v[94:95], -v[148:149]
	v_fma_f64 v[32:33], v[32:33], v[90:91], -v[138:139]
	;; [unrolled: 1-line block ×6, first 2 shown]
	v_fma_f64 v[82:83], v[26:27], v[104:105], v[207:208]
	v_fma_f64 v[98:99], v[20:21], v[112:113], v[211:212]
	v_fma_f64 v[100:101], v[20:21], v[110:111], -v[166:167]
	v_fma_f64 v[94:95], v[22:23], v[108:109], v[209:210]
	v_fma_f64 v[96:97], v[22:23], v[106:107], -v[168:169]
	v_fma_f64 v[90:91], v[26:27], v[102:103], -v[156:157]
	v_fma_f64 v[102:103], v[24:25], v[116:117], v[213:214]
	v_fma_f64 v[104:105], v[24:25], v[114:115], -v[154:155]
	v_fma_f64 v[106:107], v[36:37], v[120:121], v[215:216]
	v_fma_f64 v[108:109], v[36:37], v[118:119], -v[217:218]
	v_mul_u32_u24_e32 v173, 0x5a0, v175
	v_add_co_u32 v112, vcc_lo, s8, v164
	v_mul_hi_u32 v114, 0x5b05b06, v177
	s_wait_alu 0xfffd
	v_add_co_ci_u32_e32 v113, vcc_lo, s9, v165, vcc_lo
	v_lshlrev_b64_e32 v[110:111], 4, v[173:174]
	v_mul_u32_u24_e32 v173, 0x5a0, v176
	v_add_f64_e64 v[22:23], v[144:145], -v[50:51]
	v_add_f64_e64 v[20:21], v[14:15], -v[48:49]
	;; [unrolled: 1-line block ×6, first 2 shown]
	s_wait_dscnt 0x3
	v_add_f64_e64 v[34:35], v[178:179], -v[56:57]
	v_add_f64_e64 v[38:39], v[160:161], -v[58:59]
	;; [unrolled: 1-line block ×3, first 2 shown]
	s_wait_dscnt 0x1
	v_add_f64_e64 v[46:47], v[124:125], -v[66:67]
	v_add_f64_e64 v[50:51], v[122:123], -v[76:77]
	s_wait_dscnt 0x0
	v_add_f64_e64 v[58:59], v[126:127], -v[84:85]
	v_add_f64_e64 v[56:57], v[0:1], -v[88:89]
	;; [unrolled: 1-line block ×19, first 2 shown]
	v_add_co_u32 v132, vcc_lo, v112, v132
	s_wait_alu 0xfffd
	v_add_co_ci_u32_e32 v133, vcc_lo, v113, v133, vcc_lo
	v_lshlrev_b64_e32 v[134:135], 4, v[173:174]
	v_mul_u32_u24_e32 v173, 0x5a0, v114
	v_add_co_u32 v136, vcc_lo, v132, v110
	s_wait_alu 0xfffd
	v_add_co_ci_u32_e32 v137, vcc_lo, v133, v111, vcc_lo
	v_fma_f64 v[94:95], v[142:143], 2.0, -v[26:27]
	v_fma_f64 v[92:93], v[12:13], 2.0, -v[24:25]
	;; [unrolled: 1-line block ×30, first 2 shown]
	v_lshlrev_b64_e32 v[8:9], 4, v[173:174]
	v_add_co_u32 v14, vcc_lo, v132, v134
	s_wait_alu 0xfffd
	v_add_co_ci_u32_e32 v15, vcc_lo, v133, v135, vcc_lo
	s_delay_alu instid0(VALU_DEP_3)
	v_add_co_u32 v8, vcc_lo, v132, v8
	s_wait_alu 0xfffd
	v_add_co_ci_u32_e32 v9, vcc_lo, v133, v9, vcc_lo
	s_clause 0x1d
	global_store_b128 v[132:133], v[56:59], off offset:23040
	global_store_b128 v[132:133], v[52:55], off offset:24576
	global_store_b128 v[132:133], v[48:51], off offset:26112
	global_store_b128 v[132:133], v[44:47], off offset:27648
	global_store_b128 v[132:133], v[40:43], off offset:32256
	global_store_b128 v[132:133], v[36:39], off offset:33792
	global_store_b128 v[132:133], v[80:83], off offset:29184
	global_store_b128 v[132:133], v[76:79], off offset:30720
	global_store_b128 v[132:133], v[84:87], off offset:35328
	global_store_b128 v[132:133], v[60:63], off offset:36864
	global_store_b128 v[132:133], v[120:123], off
	global_store_b128 v[132:133], v[116:119], off offset:1536
	global_store_b128 v[132:133], v[112:115], off offset:3072
	global_store_b128 v[132:133], v[108:111], off offset:4608
	global_store_b128 v[132:133], v[104:107], off offset:9216
	global_store_b128 v[132:133], v[100:103], off offset:10752
	global_store_b128 v[136:137], v[96:99], off offset:15360
	global_store_b128 v[136:137], v[32:35], off offset:38400
	global_store_b128 v[132:133], v[28:31], off offset:39936
	global_store_b128 v[132:133], v[88:91], off offset:41472
	global_store_b128 v[14:15], v[92:95], off offset:19968
	global_store_b128 v[14:15], v[24:27], off offset:43008
	global_store_b128 v[132:133], v[16:19], off offset:6144
	global_store_b128 v[132:133], v[4:7], off offset:7680
	global_store_b128 v[132:133], v[68:71], off offset:12288
	global_store_b128 v[132:133], v[0:3], off offset:13824
	global_store_b128 v[132:133], v[10:13], off offset:16896
	global_store_b128 v[132:133], v[72:75], off offset:18432
	global_store_b128 v[8:9], v[64:67], off offset:21504
	global_store_b128 v[8:9], v[20:23], off offset:44544
.LBB0_15:
	s_nop 0
	s_sendmsg sendmsg(MSG_DEALLOC_VGPRS)
	s_endpgm
	.section	.rodata,"a",@progbits
	.p2align	6, 0x0
	.amdhsa_kernel fft_rtc_fwd_len2880_factors_10_6_6_2_2_2_wgs_96_tpt_96_halfLds_dp_ip_CI_unitstride_sbrr_dirReg
		.amdhsa_group_segment_fixed_size 0
		.amdhsa_private_segment_fixed_size 0
		.amdhsa_kernarg_size 88
		.amdhsa_user_sgpr_count 2
		.amdhsa_user_sgpr_dispatch_ptr 0
		.amdhsa_user_sgpr_queue_ptr 0
		.amdhsa_user_sgpr_kernarg_segment_ptr 1
		.amdhsa_user_sgpr_dispatch_id 0
		.amdhsa_user_sgpr_private_segment_size 0
		.amdhsa_wavefront_size32 1
		.amdhsa_uses_dynamic_stack 0
		.amdhsa_enable_private_segment 0
		.amdhsa_system_sgpr_workgroup_id_x 1
		.amdhsa_system_sgpr_workgroup_id_y 0
		.amdhsa_system_sgpr_workgroup_id_z 0
		.amdhsa_system_sgpr_workgroup_info 0
		.amdhsa_system_vgpr_workitem_id 0
		.amdhsa_next_free_vgpr 247
		.amdhsa_next_free_sgpr 32
		.amdhsa_reserve_vcc 1
		.amdhsa_float_round_mode_32 0
		.amdhsa_float_round_mode_16_64 0
		.amdhsa_float_denorm_mode_32 3
		.amdhsa_float_denorm_mode_16_64 3
		.amdhsa_fp16_overflow 0
		.amdhsa_workgroup_processor_mode 1
		.amdhsa_memory_ordered 1
		.amdhsa_forward_progress 0
		.amdhsa_round_robin_scheduling 0
		.amdhsa_exception_fp_ieee_invalid_op 0
		.amdhsa_exception_fp_denorm_src 0
		.amdhsa_exception_fp_ieee_div_zero 0
		.amdhsa_exception_fp_ieee_overflow 0
		.amdhsa_exception_fp_ieee_underflow 0
		.amdhsa_exception_fp_ieee_inexact 0
		.amdhsa_exception_int_div_zero 0
	.end_amdhsa_kernel
	.text
.Lfunc_end0:
	.size	fft_rtc_fwd_len2880_factors_10_6_6_2_2_2_wgs_96_tpt_96_halfLds_dp_ip_CI_unitstride_sbrr_dirReg, .Lfunc_end0-fft_rtc_fwd_len2880_factors_10_6_6_2_2_2_wgs_96_tpt_96_halfLds_dp_ip_CI_unitstride_sbrr_dirReg
                                        ; -- End function
	.section	.AMDGPU.csdata,"",@progbits
; Kernel info:
; codeLenInByte = 19152
; NumSgprs: 34
; NumVgprs: 247
; ScratchSize: 0
; MemoryBound: 1
; FloatMode: 240
; IeeeMode: 1
; LDSByteSize: 0 bytes/workgroup (compile time only)
; SGPRBlocks: 4
; VGPRBlocks: 30
; NumSGPRsForWavesPerEU: 34
; NumVGPRsForWavesPerEU: 247
; Occupancy: 5
; WaveLimiterHint : 1
; COMPUTE_PGM_RSRC2:SCRATCH_EN: 0
; COMPUTE_PGM_RSRC2:USER_SGPR: 2
; COMPUTE_PGM_RSRC2:TRAP_HANDLER: 0
; COMPUTE_PGM_RSRC2:TGID_X_EN: 1
; COMPUTE_PGM_RSRC2:TGID_Y_EN: 0
; COMPUTE_PGM_RSRC2:TGID_Z_EN: 0
; COMPUTE_PGM_RSRC2:TIDIG_COMP_CNT: 0
	.text
	.p2alignl 7, 3214868480
	.fill 96, 4, 3214868480
	.type	__hip_cuid_609357acdf65bb47,@object ; @__hip_cuid_609357acdf65bb47
	.section	.bss,"aw",@nobits
	.globl	__hip_cuid_609357acdf65bb47
__hip_cuid_609357acdf65bb47:
	.byte	0                               ; 0x0
	.size	__hip_cuid_609357acdf65bb47, 1

	.ident	"AMD clang version 19.0.0git (https://github.com/RadeonOpenCompute/llvm-project roc-6.4.0 25133 c7fe45cf4b819c5991fe208aaa96edf142730f1d)"
	.section	".note.GNU-stack","",@progbits
	.addrsig
	.addrsig_sym __hip_cuid_609357acdf65bb47
	.amdgpu_metadata
---
amdhsa.kernels:
  - .args:
      - .actual_access:  read_only
        .address_space:  global
        .offset:         0
        .size:           8
        .value_kind:     global_buffer
      - .offset:         8
        .size:           8
        .value_kind:     by_value
      - .actual_access:  read_only
        .address_space:  global
        .offset:         16
        .size:           8
        .value_kind:     global_buffer
      - .actual_access:  read_only
        .address_space:  global
        .offset:         24
        .size:           8
        .value_kind:     global_buffer
      - .offset:         32
        .size:           8
        .value_kind:     by_value
      - .actual_access:  read_only
        .address_space:  global
        .offset:         40
        .size:           8
        .value_kind:     global_buffer
      - .actual_access:  read_only
        .address_space:  global
        .offset:         48
        .size:           8
        .value_kind:     global_buffer
      - .offset:         56
        .size:           4
        .value_kind:     by_value
      - .actual_access:  read_only
        .address_space:  global
        .offset:         64
        .size:           8
        .value_kind:     global_buffer
      - .actual_access:  read_only
        .address_space:  global
        .offset:         72
        .size:           8
        .value_kind:     global_buffer
      - .address_space:  global
        .offset:         80
        .size:           8
        .value_kind:     global_buffer
    .group_segment_fixed_size: 0
    .kernarg_segment_align: 8
    .kernarg_segment_size: 88
    .language:       OpenCL C
    .language_version:
      - 2
      - 0
    .max_flat_workgroup_size: 96
    .name:           fft_rtc_fwd_len2880_factors_10_6_6_2_2_2_wgs_96_tpt_96_halfLds_dp_ip_CI_unitstride_sbrr_dirReg
    .private_segment_fixed_size: 0
    .sgpr_count:     34
    .sgpr_spill_count: 0
    .symbol:         fft_rtc_fwd_len2880_factors_10_6_6_2_2_2_wgs_96_tpt_96_halfLds_dp_ip_CI_unitstride_sbrr_dirReg.kd
    .uniform_work_group_size: 1
    .uses_dynamic_stack: false
    .vgpr_count:     247
    .vgpr_spill_count: 0
    .wavefront_size: 32
    .workgroup_processor_mode: 1
amdhsa.target:   amdgcn-amd-amdhsa--gfx1201
amdhsa.version:
  - 1
  - 2
...

	.end_amdgpu_metadata
